;; amdgpu-corpus repo=ROCm/rocFFT kind=compiled arch=gfx950 opt=O3
	.text
	.amdgcn_target "amdgcn-amd-amdhsa--gfx950"
	.amdhsa_code_object_version 6
	.protected	bluestein_single_fwd_len1152_dim1_half_op_CI_CI ; -- Begin function bluestein_single_fwd_len1152_dim1_half_op_CI_CI
	.globl	bluestein_single_fwd_len1152_dim1_half_op_CI_CI
	.p2align	8
	.type	bluestein_single_fwd_len1152_dim1_half_op_CI_CI,@function
bluestein_single_fwd_len1152_dim1_half_op_CI_CI: ; @bluestein_single_fwd_len1152_dim1_half_op_CI_CI
; %bb.0:
	s_load_dwordx4 s[4:7], s[0:1], 0x28
	v_mul_u32_u24_e32 v1, 0x1c8, v0
	v_mov_b32_e32 v21, 0
	v_add_u32_sdwa v22, s2, v1 dst_sel:DWORD dst_unused:UNUSED_PAD src0_sel:DWORD src1_sel:WORD_1
	v_mov_b32_e32 v23, v21
	s_waitcnt lgkmcnt(0)
	v_cmp_gt_u64_e32 vcc, s[4:5], v[22:23]
	s_and_saveexec_b64 s[2:3], vcc
	s_cbranch_execz .LBB0_18
; %bb.1:
	s_load_dwordx4 s[12:15], s[0:1], 0x18
	s_load_dwordx4 s[8:11], s[0:1], 0x0
	v_mov_b32_e32 v2, s6
	v_mov_b32_e32 v3, s7
	s_movk_i32 s2, 0x90
	s_waitcnt lgkmcnt(0)
	s_load_dwordx4 s[4:7], s[12:13], 0x0
	v_mul_lo_u16_sdwa v1, v1, s2 dst_sel:DWORD dst_unused:UNUSED_PAD src0_sel:WORD_1 src1_sel:DWORD
	v_sub_u16_e32 v20, v0, v1
	v_lshlrev_b32_e32 v45, 2, v20
	global_load_dword v44, v45, s[8:9]
	s_waitcnt lgkmcnt(0)
	v_mad_u64_u32 v[0:1], s[2:3], s6, v22, 0
	v_mov_b32_e32 v4, v1
	v_mad_u64_u32 v[4:5], s[2:3], s7, v22, v[4:5]
	v_mov_b32_e32 v1, v4
	v_mad_u64_u32 v[4:5], s[2:3], s4, v20, 0
	v_mov_b32_e32 v6, v5
	v_mad_u64_u32 v[6:7], s[2:3], s5, v20, v[6:7]
	v_mov_b32_e32 v5, v6
	v_lshl_add_u64 v[0:1], v[0:1], 2, v[2:3]
	v_lshl_add_u64 v[0:1], v[4:5], 2, v[0:1]
	v_mov_b32_e32 v5, 0x480
	global_load_dword v4, v[0:1], off
	v_mad_u64_u32 v[0:1], s[2:3], s4, v5, v[0:1]
	s_mul_i32 s6, s5, 0x480
	v_add_u32_e32 v1, s6, v1
	global_load_dword v43, v45, s[8:9] offset:1152
	global_load_dword v6, v[0:1], off
	v_mad_u64_u32 v[0:1], s[2:3], s4, v5, v[0:1]
	v_add_u32_e32 v1, s6, v1
	global_load_dword v42, v45, s[8:9] offset:2304
	global_load_dword v7, v[0:1], off
	v_mad_u64_u32 v[0:1], s[2:3], s4, v5, v[0:1]
	v_add_u32_e32 v1, s6, v1
	v_mov_b32_e32 v2, 0xfffff4c0
	v_mad_u64_u32 v[2:3], s[2:3], s4, v2, v[0:1]
	s_mul_i32 s2, s5, 0xfffff4c0
	global_load_dword v8, v[0:1], off
	s_sub_i32 s2, s2, s4
	global_load_dword v41, v45, s[8:9] offset:3456
	v_add_u32_e32 v3, s2, v3
	v_mad_u64_u32 v[0:1], s[2:3], s4, v5, v[2:3]
	global_load_dword v9, v[2:3], off
	global_load_dword v23, v45, s[8:9] offset:4032
	global_load_dword v38, v45, s[8:9] offset:2880
	;; [unrolled: 1-line block ×4, first 2 shown]
	v_add_u32_e32 v1, s6, v1
	global_load_dword v2, v[0:1], off
	v_mad_u64_u32 v[0:1], s[2:3], s4, v5, v[0:1]
	v_add_u32_e32 v1, s6, v1
	global_load_dword v3, v[0:1], off
	v_mad_u64_u32 v[0:1], s[2:3], s4, v5, v[0:1]
	v_add_u32_e32 v1, s6, v1
	global_load_dword v0, v[0:1], off
	s_load_dwordx2 s[2:3], s[0:1], 0x38
	s_load_dwordx4 s[4:7], s[14:15], 0x0
	v_add_u32_e32 v12, 0xc00, v45
	s_mov_b64 s[0:1], 0x90
	s_waitcnt vmcnt(14)
	v_lshrrev_b32_e32 v1, 16, v4
	v_mul_f16_sdwa v5, v44, v4 dst_sel:DWORD dst_unused:UNUSED_PAD src0_sel:WORD_1 src1_sel:DWORD
	v_mul_f16_sdwa v10, v44, v1 dst_sel:DWORD dst_unused:UNUSED_PAD src0_sel:WORD_1 src1_sel:DWORD
	v_fma_f16 v1, v44, v1, -v5
	v_fma_f16 v4, v44, v4, v10
	s_waitcnt vmcnt(12)
	v_lshrrev_b32_e32 v5, 16, v6
	v_mul_f16_sdwa v10, v43, v6 dst_sel:DWORD dst_unused:UNUSED_PAD src0_sel:WORD_1 src1_sel:DWORD
	v_pack_b32_f16 v1, v4, v1
	v_mul_f16_sdwa v4, v43, v5 dst_sel:DWORD dst_unused:UNUSED_PAD src0_sel:WORD_1 src1_sel:DWORD
	v_fma_f16 v5, v43, v5, -v10
	v_fma_f16 v4, v43, v6, v4
	s_waitcnt vmcnt(10)
	v_lshrrev_b32_e32 v6, 16, v7
	v_mul_f16_sdwa v10, v42, v7 dst_sel:DWORD dst_unused:UNUSED_PAD src0_sel:WORD_1 src1_sel:DWORD
	v_pack_b32_f16 v4, v4, v5
	v_mul_f16_sdwa v5, v42, v6 dst_sel:DWORD dst_unused:UNUSED_PAD src0_sel:WORD_1 src1_sel:DWORD
	v_fma_f16 v6, v42, v6, -v10
	ds_write_b32 v45, v4 offset:1152
	v_fma_f16 v4, v42, v7, v5
	s_waitcnt vmcnt(9)
	v_lshrrev_b32_e32 v5, 16, v8
	s_waitcnt vmcnt(8)
	v_mul_f16_sdwa v7, v41, v8 dst_sel:DWORD dst_unused:UNUSED_PAD src0_sel:WORD_1 src1_sel:DWORD
	v_pack_b32_f16 v4, v4, v6
	v_mul_f16_sdwa v6, v41, v5 dst_sel:DWORD dst_unused:UNUSED_PAD src0_sel:WORD_1 src1_sel:DWORD
	v_fma_f16 v5, v41, v5, -v7
	ds_write_b32 v45, v4 offset:2304
	v_fma_f16 v4, v41, v8, v6
	s_waitcnt vmcnt(7)
	v_lshrrev_b32_e32 v6, 16, v9
	s_waitcnt vmcnt(3)
	v_mul_f16_sdwa v7, v40, v9 dst_sel:DWORD dst_unused:UNUSED_PAD src0_sel:WORD_1 src1_sel:DWORD
	v_pack_b32_f16 v4, v4, v5
	v_mul_f16_sdwa v5, v40, v6 dst_sel:DWORD dst_unused:UNUSED_PAD src0_sel:WORD_1 src1_sel:DWORD
	v_fma_f16 v6, v40, v6, -v7
	ds_write_b32 v45, v4 offset:3456
	v_fma_f16 v4, v40, v9, v5
	s_waitcnt vmcnt(2)
	v_lshrrev_b32_e32 v5, 16, v2
	v_mul_f16_sdwa v7, v39, v2 dst_sel:DWORD dst_unused:UNUSED_PAD src0_sel:WORD_1 src1_sel:DWORD
	v_pack_b32_f16 v4, v4, v6
	v_mul_f16_sdwa v6, v39, v5 dst_sel:DWORD dst_unused:UNUSED_PAD src0_sel:WORD_1 src1_sel:DWORD
	v_fma_f16 v5, v39, v5, -v7
	ds_write2_b32 v45, v1, v4 offset1:144
	v_fma_f16 v1, v39, v2, v6
	s_waitcnt vmcnt(1)
	v_lshrrev_b32_e32 v2, 16, v3
	v_pack_b32_f16 v1, v1, v5
	v_mul_f16_sdwa v4, v38, v2 dst_sel:DWORD dst_unused:UNUSED_PAD src0_sel:WORD_1 src1_sel:DWORD
	ds_write_b32 v45, v1 offset:1728
	v_fma_f16 v1, v38, v3, v4
	v_mul_f16_sdwa v3, v38, v3 dst_sel:DWORD dst_unused:UNUSED_PAD src0_sel:WORD_1 src1_sel:DWORD
	v_fma_f16 v2, v38, v2, -v3
	v_pack_b32_f16 v1, v1, v2
	ds_write_b32 v45, v1 offset:2880
	s_waitcnt vmcnt(0)
	v_lshrrev_b32_e32 v1, 16, v0
	v_mul_f16_sdwa v2, v23, v1 dst_sel:DWORD dst_unused:UNUSED_PAD src0_sel:WORD_1 src1_sel:DWORD
	v_fma_f16 v2, v23, v0, v2
	v_mul_f16_sdwa v0, v23, v0 dst_sel:DWORD dst_unused:UNUSED_PAD src0_sel:WORD_1 src1_sel:DWORD
	v_fma_f16 v0, v23, v1, -v0
	v_pack_b32_f16 v0, v2, v0
	v_add_u32_e32 v2, 0x400, v45
	ds_write_b32 v45, v0 offset:4032
	s_waitcnt lgkmcnt(0)
	s_barrier
	ds_read2_b32 v[6:7], v2 offset0:32 offset1:176
	v_add_u32_e32 v2, 0x800, v45
	ds_read2_b32 v[0:1], v45 offset1:144
	ds_read2_b32 v[8:9], v2 offset0:64 offset1:208
	ds_read2_b32 v[10:11], v12 offset0:96 offset1:240
	v_lshl_add_u64 v[4:5], v[20:21], 0, s[0:1]
	v_lshlrev_b16_e32 v3, 2, v20
	v_lshlrev_b32_e32 v32, 2, v3
	s_waitcnt lgkmcnt(1)
	v_pk_add_f16 v5, v1, v9 neg_lo:[0,1] neg_hi:[0,1]
	v_pk_add_f16 v3, v0, v8 neg_lo:[0,1] neg_hi:[0,1]
	v_pk_fma_f16 v13, v1, 2.0, v5 op_sel_hi:[1,0,1] neg_lo:[0,0,1] neg_hi:[0,0,1]
	s_waitcnt lgkmcnt(0)
	v_pk_add_f16 v1, v7, v11 neg_lo:[0,1] neg_hi:[0,1]
	v_pk_fma_f16 v0, v0, 2.0, v3 op_sel_hi:[1,0,1] neg_lo:[0,0,1] neg_hi:[0,0,1]
	v_pk_fma_f16 v2, v7, 2.0, v1 op_sel_hi:[1,0,1] neg_lo:[0,0,1] neg_hi:[0,0,1]
	v_pk_add_f16 v7, v6, v10 neg_lo:[0,1] neg_hi:[0,1]
	v_lshrrev_b32_e32 v10, 16, v3
	v_pk_fma_f16 v6, v6, 2.0, v7 op_sel_hi:[1,0,1] neg_lo:[0,0,1] neg_hi:[0,0,1]
	s_nop 0
	v_pk_add_f16 v8, v0, v6 neg_lo:[0,1] neg_hi:[0,1]
	v_lshrrev_b32_e32 v6, 16, v0
	v_lshrrev_b32_e32 v9, 16, v8
	v_fma_f16 v6, v6, 2.0, -v9
	v_sub_f16_sdwa v9, v3, v7 dst_sel:DWORD dst_unused:UNUSED_PAD src0_sel:DWORD src1_sel:WORD_1
	v_add_f16_e32 v7, v10, v7
	v_fma_f16 v0, v0, 2.0, -v8
	v_fma_f16 v3, v3, 2.0, -v9
	;; [unrolled: 1-line block ×3, first 2 shown]
	v_pack_b32_f16 v9, v9, v7
	v_pack_b32_f16 v7, v3, v10
	;; [unrolled: 1-line block ×3, first 2 shown]
	s_barrier
	ds_write_b128 v32, v[6:9]
	v_pk_add_f16 v9, v5, v1 op_sel:[0,1] op_sel_hi:[1,0] neg_lo:[0,1] neg_hi:[0,1]
	v_pk_add_f16 v6, v5, v1 op_sel:[0,1] op_sel_hi:[1,0]
	s_mov_b32 s0, 0xffff
	v_pk_add_f16 v2, v13, v2 neg_lo:[0,1] neg_hi:[0,1]
	v_bfi_b32 v3, s0, v9, v6
	v_lshlrev_b32_e32 v34, 4, v4
	v_pk_fma_f16 v1, v5, 2.0, v3 op_sel_hi:[1,0,1] neg_lo:[0,0,1] neg_hi:[0,0,1]
	v_pk_fma_f16 v0, v13, 2.0, v2 op_sel_hi:[1,0,1] neg_lo:[0,0,1] neg_hi:[0,0,1]
	ds_write_b128 v34, v[0:3]
	v_add_u32_e32 v3, 0x600, v45
	s_waitcnt lgkmcnt(0)
	s_barrier
	ds_read2_b32 v[0:1], v45 offset1:144
	ds_read2_b32 v[10:11], v3 offset1:144
	;; [unrolled: 1-line block ×3, first 2 shown]
	s_movk_i32 s0, 0x60
	v_cmp_gt_u16_e32 vcc, s0, v20
	v_lshrrev_b32_e32 v14, 16, v6
                                        ; implicit-def: $vgpr3
                                        ; implicit-def: $vgpr5
	s_and_saveexec_b64 s[0:1], vcc
	s_cbranch_execz .LBB0_3
; %bb.2:
	v_add_u32_e32 v2, 0x80, v45
	ds_read_b32 v3, v45 offset:4224
	ds_read2st64_b32 v[8:9], v2 offset0:4 offset1:10
	s_waitcnt lgkmcnt(1)
	v_lshrrev_b32_e32 v5, 16, v3
	s_waitcnt lgkmcnt(0)
	v_lshrrev_b32_e32 v14, 16, v9
	v_mov_b32_e32 v2, v8
.LBB0_3:
	s_or_b64 exec, exec, s[0:1]
	v_and_b32_e32 v46, 3, v20
	v_lshlrev_b32_e32 v6, 3, v46
	global_load_dwordx2 v[24:25], v6, s[10:11]
	s_mov_b64 s[0:1], 0x120
	v_lshrrev_b32_e32 v27, 2, v20
	v_lshl_add_u64 v[6:7], v[20:21], 0, s[0:1]
	v_mul_u32_u24_e32 v7, 12, v27
	s_waitcnt lgkmcnt(1)
	v_lshrrev_b32_e32 v16, 16, v10
	s_waitcnt lgkmcnt(0)
	v_lshrrev_b32_e32 v17, 16, v12
	v_lshrrev_b32_e32 v28, 2, v4
	v_or_b32_e32 v7, v7, v46
	v_lshrrev_b32_e32 v19, 16, v11
	v_mul_u32_u24_e32 v27, 12, v28
	v_lshlrev_b32_e32 v47, 2, v7
	v_lshrrev_b32_e32 v15, 16, v0
	v_lshrrev_b32_e32 v26, 16, v13
	s_movk_i32 s12, 0x3aee
	s_mov_b32 s13, 0xbaee
	v_lshrrev_b32_e32 v18, 16, v1
	v_lshrrev_b32_e32 v8, 16, v2
	s_barrier
	s_waitcnt vmcnt(0)
	v_mul_f16_sdwa v7, v16, v24 dst_sel:DWORD dst_unused:UNUSED_PAD src0_sel:DWORD src1_sel:WORD_1
	v_mul_f16_sdwa v28, v10, v24 dst_sel:DWORD dst_unused:UNUSED_PAD src0_sel:DWORD src1_sel:WORD_1
	;; [unrolled: 1-line block ×6, first 2 shown]
	v_fma_f16 v7, v10, v24, -v7
	v_fma_f16 v16, v16, v24, v28
	v_fma_f16 v28, v12, v25, -v29
	v_fma_f16 v17, v17, v25, v30
	v_mul_f16_sdwa v33, v11, v24 dst_sel:DWORD dst_unused:UNUSED_PAD src0_sel:DWORD src1_sel:WORD_1
	v_mul_f16_sdwa v35, v26, v25 dst_sel:DWORD dst_unused:UNUSED_PAD src0_sel:DWORD src1_sel:WORD_1
	;; [unrolled: 1-line block ×4, first 2 shown]
	v_fma_f16 v11, v11, v24, -v31
	v_fma_f16 v10, v14, v24, v48
	v_add_f16_e32 v14, v0, v7
	v_add_f16_e32 v29, v7, v28
	v_sub_f16_e32 v30, v16, v17
	v_add_f16_e32 v31, v15, v16
	v_add_f16_e32 v16, v16, v17
	v_fma_f16 v12, v19, v24, v33
	v_fma_f16 v19, v13, v25, -v35
	v_fma_f16 v26, v26, v25, v36
	v_sub_f16_e32 v7, v7, v28
	v_add_f16_e32 v14, v14, v28
	v_fma_f16 v28, v29, -0.5, v0
	v_fma_f16 v15, v16, -0.5, v15
	v_mul_f16_sdwa v49, v5, v25 dst_sel:DWORD dst_unused:UNUSED_PAD src0_sel:DWORD src1_sel:WORD_1
	v_mul_f16_sdwa v50, v3, v25 dst_sel:DWORD dst_unused:UNUSED_PAD src0_sel:DWORD src1_sel:WORD_1
	v_add_f16_e32 v33, v1, v11
	v_add_f16_e32 v35, v11, v19
	;; [unrolled: 1-line block ×4, first 2 shown]
	v_fma_f16 v29, v30, s12, v28
	v_fma_f16 v28, v30, s13, v28
	v_fma_f16 v30, v7, s13, v15
	v_fma_f16 v9, v9, v24, -v37
	v_fma_f16 v3, v3, v25, -v49
	v_fma_f16 v5, v5, v25, v50
	v_sub_f16_e32 v36, v12, v26
	v_add_f16_e32 v37, v18, v12
	v_sub_f16_e32 v11, v11, v19
	v_add_f16_e32 v16, v33, v19
	v_fma_f16 v19, v35, -0.5, v1
	v_fma_f16 v18, v48, -0.5, v18
	v_fma_f16 v15, v7, s12, v15
	v_pack_b32_f16 v14, v14, v17
	v_pack_b32_f16 v17, v29, v30
	v_add_f16_e32 v49, v9, v3
	v_add_f16_e32 v50, v10, v5
	v_fma_f16 v31, v36, s12, v19
	v_fma_f16 v19, v36, s13, v19
	;; [unrolled: 1-line block ×4, first 2 shown]
	v_pack_b32_f16 v15, v28, v15
	ds_write2_b32 v47, v14, v17 offset1:4
	ds_write_b32 v47, v15 offset:32
	v_or_b32_e32 v14, v27, v46
	v_sub_f16_e32 v12, v10, v5
	v_sub_f16_e32 v13, v9, v3
	v_add_f16_e32 v26, v37, v26
	v_fma_f16 v0, v49, -0.5, v2
	v_fma_f16 v1, v50, -0.5, v8
	v_lshlrev_b32_e32 v48, 2, v14
	v_pack_b32_f16 v11, v19, v11
	v_fma_f16 v7, v12, s13, v0
	v_fma_f16 v33, v13, s12, v1
	v_pack_b32_f16 v14, v16, v26
	v_pack_b32_f16 v15, v31, v35
	ds_write_b32 v48, v11 offset:32
	v_lshrrev_b32_e32 v11, 2, v6
	ds_write2_b32 v48, v14, v15 offset1:4
	s_and_saveexec_b64 s[0:1], vcc
	s_cbranch_execz .LBB0_5
; %bb.4:
	v_add_f16_e32 v2, v2, v9
	v_mul_f16_e32 v12, 0x3aee, v12
	v_mul_f16_e32 v13, 0x3aee, v13
	v_add_f16_e32 v8, v8, v10
	v_add_f16_e32 v2, v2, v3
	v_mul_u32_u24_e32 v3, 12, v11
	v_sub_f16_e32 v1, v1, v13
	v_add_f16_e32 v0, v12, v0
	v_add_f16_e32 v5, v8, v5
	v_or_b32_e32 v3, v3, v46
	v_lshlrev_b32_e32 v3, 2, v3
	v_pack_b32_f16 v2, v2, v5
	v_pack_b32_f16 v0, v0, v1
	s_mov_b32 s12, 0x5040100
	ds_write2_b32 v3, v2, v0 offset1:4
	v_perm_b32 v0, v33, v7, s12
	ds_write_b32 v3, v0 offset:32
.LBB0_5:
	s_or_b64 exec, exec, s[0:1]
	s_movk_i32 s0, 0xab
	v_mul_lo_u16_sdwa v0, v20, s0 dst_sel:DWORD dst_unused:UNUSED_PAD src0_sel:BYTE_0 src1_sel:DWORD
	v_lshrrev_b16_e32 v5, 11, v0
	v_mul_lo_u16_e32 v0, 12, v5
	v_sub_u16_e32 v0, v20, v0
	v_and_b32_e32 v26, 0xff, v0
	v_mad_u64_u32 v[12:13], s[0:1], v26, 28, s[10:11]
	s_waitcnt lgkmcnt(0)
	s_barrier
	global_load_dwordx4 v[0:3], v[12:13], off offset:32
	global_load_dwordx3 v[8:10], v[12:13], off offset:48
	v_add_u32_e32 v14, 0x400, v45
	v_add_u32_e32 v16, 0x800, v45
	ds_read2_b32 v[12:13], v45 offset1:144
	v_add_u32_e32 v27, 0xc00, v45
	ds_read2_b32 v[14:15], v14 offset0:32 offset1:176
	ds_read2_b32 v[16:17], v16 offset0:64 offset1:208
	;; [unrolled: 1-line block ×3, first 2 shown]
	s_mov_b32 s0, 0xb9a8
	s_movk_i32 s1, 0x39a8
	s_waitcnt lgkmcnt(2)
	v_lshrrev_b32_e32 v30, 16, v14
	v_lshrrev_b32_e32 v31, 16, v15
	s_waitcnt lgkmcnt(0)
	v_lshrrev_b32_e32 v37, 16, v18
	v_lshrrev_b32_e32 v49, 16, v19
	;; [unrolled: 1-line block ×6, first 2 shown]
	v_mul_u32_u24_e32 v5, 0x60, v5
	v_or_b32_e32 v5, v5, v26
	s_barrier
	s_waitcnt vmcnt(1)
	v_mul_f16_sdwa v51, v13, v0 dst_sel:DWORD dst_unused:UNUSED_PAD src0_sel:DWORD src1_sel:WORD_1
	v_mul_f16_sdwa v52, v30, v1 dst_sel:DWORD dst_unused:UNUSED_PAD src0_sel:DWORD src1_sel:WORD_1
	;; [unrolled: 1-line block ×4, first 2 shown]
	s_waitcnt vmcnt(0)
	v_mul_f16_sdwa v59, v17, v8 dst_sel:DWORD dst_unused:UNUSED_PAD src0_sel:DWORD src1_sel:WORD_1
	v_mul_f16_sdwa v60, v37, v9 dst_sel:DWORD dst_unused:UNUSED_PAD src0_sel:DWORD src1_sel:WORD_1
	;; [unrolled: 1-line block ×10, first 2 shown]
	v_fma_f16 v29, v29, v0, v51
	v_fma_f16 v14, v14, v1, -v52
	v_fma_f16 v15, v15, v2, -v54
	v_fma_f16 v35, v35, v3, v57
	v_fma_f16 v36, v36, v8, v59
	v_fma_f16 v18, v18, v9, -v60
	v_fma_f16 v19, v19, v10, -v62
	;; [unrolled: 1-line block ×3, first 2 shown]
	v_fma_f16 v30, v30, v1, v53
	v_fma_f16 v31, v31, v2, v55
	v_fma_f16 v16, v16, v3, -v56
	v_fma_f16 v17, v17, v8, -v58
	v_fma_f16 v37, v37, v9, v61
	v_fma_f16 v49, v49, v10, v63
	v_sub_f16_e32 v35, v28, v35
	v_sub_f16_e32 v18, v14, v18
	;; [unrolled: 1-line block ×8, first 2 shown]
	v_fma_f16 v14, v14, 2.0, -v18
	v_fma_f16 v15, v15, 2.0, -v19
	v_add_f16_e32 v18, v35, v18
	v_add_f16_e32 v19, v36, v19
	v_fma_f16 v28, v28, 2.0, -v35
	v_fma_f16 v30, v30, 2.0, -v37
	;; [unrolled: 1-line block ×4, first 2 shown]
	v_sub_f16_e32 v37, v16, v37
	v_sub_f16_e32 v49, v17, v49
	v_fma_f16 v35, v35, 2.0, -v18
	v_fma_f16 v36, v36, 2.0, -v19
	;; [unrolled: 1-line block ×6, first 2 shown]
	v_fma_f16 v51, v36, s0, v35
	v_sub_f16_e32 v14, v12, v14
	v_sub_f16_e32 v30, v28, v30
	v_sub_f16_e32 v15, v13, v15
	v_sub_f16_e32 v31, v29, v31
	v_fma_f16 v50, v17, s0, v16
	v_fma_f16 v17, v17, s1, v51
	v_fma_f16 v12, v12, 2.0, -v14
	v_fma_f16 v28, v28, 2.0, -v30
	;; [unrolled: 1-line block ×5, first 2 shown]
	v_add_f16_e32 v35, v30, v15
	v_sub_f16_e32 v52, v12, v13
	v_sub_f16_e32 v29, v28, v29
	v_fma_f16 v50, v36, s0, v50
	v_fma_f16 v15, v30, 2.0, -v35
	v_fma_f16 v13, v49, s1, v37
	v_fma_f16 v30, v19, s1, v18
	v_fma_f16 v53, v12, 2.0, -v52
	v_fma_f16 v28, v28, 2.0, -v29
	;; [unrolled: 1-line block ×3, first 2 shown]
	v_sub_f16_e32 v12, v14, v31
	v_fma_f16 v13, v19, s0, v13
	v_fma_f16 v36, v49, s1, v30
	v_fma_f16 v14, v14, 2.0, -v12
	v_fma_f16 v19, v37, 2.0, -v13
	;; [unrolled: 1-line block ×3, first 2 shown]
	v_lshlrev_b32_e32 v49, 2, v5
	v_pack_b32_f16 v5, v53, v28
	v_pack_b32_f16 v16, v16, v51
	ds_write2_b32 v49, v5, v16 offset1:12
	v_pack_b32_f16 v5, v14, v15
	v_pack_b32_f16 v14, v19, v18
	ds_write2_b32 v49, v5, v14 offset0:24 offset1:36
	v_pack_b32_f16 v5, v52, v29
	v_pack_b32_f16 v14, v50, v17
	ds_write2_b32 v49, v5, v14 offset0:48 offset1:60
	;; [unrolled: 3-line block ×3, first 2 shown]
	v_add_u32_e32 v5, 0x600, v45
	s_waitcnt lgkmcnt(0)
	s_barrier
	ds_read2_b32 v[14:15], v45 offset1:144
	ds_read2_b32 v[16:17], v5 offset1:144
	;; [unrolled: 1-line block ×3, first 2 shown]
	s_and_saveexec_b64 s[0:1], vcc
	s_cbranch_execz .LBB0_7
; %bb.6:
	v_add_u32_e32 v5, 0x80, v45
	ds_read2st64_b32 v[12:13], v5 offset0:4 offset1:10
	ds_read_b32 v7, v45 offset:4224
	s_waitcnt lgkmcnt(1)
	v_lshrrev_b32_e32 v35, 16, v12
	v_lshrrev_b32_e32 v36, 16, v13
	s_waitcnt lgkmcnt(0)
	v_lshrrev_b32_e32 v33, 16, v7
.LBB0_7:
	s_or_b64 exec, exec, s[0:1]
	s_movk_i32 s0, 0xffa0
	s_mov_b32 s1, -1
	v_lshl_add_u64 v[26:27], v[20:21], 0, s[0:1]
	s_mov_b32 s0, 0xaaab
	v_cndmask_b32_e64 v53, v27, 0, vcc
	v_cndmask_b32_e32 v52, v26, v20, vcc
	v_mul_u32_u24_sdwa v21, v4, s0 dst_sel:DWORD dst_unused:UNUSED_PAD src0_sel:WORD_0 src1_sel:DWORD
	v_lshl_add_u64 v[26:27], v[52:53], 3, s[10:11]
	v_lshrrev_b32_e32 v21, 22, v21
	global_load_dwordx2 v[28:29], v[26:27], off offset:368
	v_mul_lo_u16_e32 v26, 0x60, v21
	v_sub_u16_e32 v37, v4, v26
	v_mov_b32_e32 v5, 0
	v_lshlrev_b16_e32 v4, 3, v37
	v_lshl_add_u64 v[26:27], s[10:11], 0, v[4:5]
	v_mul_u32_u24_sdwa v4, v6, s0 dst_sel:DWORD dst_unused:UNUSED_PAD src0_sel:WORD_0 src1_sel:DWORD
	v_lshrrev_b32_e32 v4, 22, v4
	v_mul_lo_u16_e32 v4, 0x60, v4
	v_sub_u16_e32 v53, v6, v4
	v_lshlrev_b16_e32 v4, 3, v53
	global_load_dwordx2 v[30:31], v[26:27], off offset:368
	v_lshl_add_u64 v[26:27], s[10:11], 0, v[4:5]
	global_load_dwordx2 v[26:27], v[26:27], off offset:368
	s_waitcnt lgkmcnt(1)
	v_lshrrev_b32_e32 v6, 16, v16
	s_waitcnt lgkmcnt(0)
	v_lshrrev_b32_e32 v50, 16, v18
	v_lshrrev_b32_e32 v4, 16, v14
	;; [unrolled: 1-line block ×5, first 2 shown]
	s_movk_i32 s0, 0x3aee
	s_mov_b32 s1, 0xbaee
	s_movk_i32 s13, 0x120
	v_mad_legacy_u16 v21, v21, s13, v37
	s_barrier
	v_lshlrev_b32_e32 v21, 2, v21
	s_mov_b32 s12, 0xffff
	s_waitcnt vmcnt(2)
	v_mul_f16_sdwa v56, v6, v28 dst_sel:DWORD dst_unused:UNUSED_PAD src0_sel:DWORD src1_sel:WORD_1
	v_mul_f16_sdwa v57, v16, v28 dst_sel:DWORD dst_unused:UNUSED_PAD src0_sel:DWORD src1_sel:WORD_1
	;; [unrolled: 1-line block ×4, first 2 shown]
	v_fma_f16 v16, v16, v28, -v56
	v_fma_f16 v6, v6, v28, v57
	v_fma_f16 v18, v18, v29, -v58
	v_fma_f16 v50, v50, v29, v59
	v_add_f16_e32 v56, v14, v16
	v_add_f16_e32 v57, v16, v18
	v_sub_f16_e32 v58, v6, v50
	v_add_f16_e32 v59, v4, v6
	v_add_f16_e32 v6, v6, v50
	s_waitcnt vmcnt(1)
	v_mul_f16_sdwa v60, v54, v30 dst_sel:DWORD dst_unused:UNUSED_PAD src0_sel:DWORD src1_sel:WORD_1
	v_mul_f16_sdwa v61, v17, v30 dst_sel:DWORD dst_unused:UNUSED_PAD src0_sel:DWORD src1_sel:WORD_1
	;; [unrolled: 1-line block ×4, first 2 shown]
	v_sub_f16_e32 v16, v16, v18
	v_add_f16_e32 v56, v56, v18
	v_fma_f16 v14, v57, -0.5, v14
	v_add_f16_e32 v57, v59, v50
	v_fma_f16 v4, v6, -0.5, v4
	v_fma_f16 v17, v17, v30, -v60
	v_fma_f16 v18, v54, v30, v61
	v_fma_f16 v19, v19, v31, -v62
	v_fma_f16 v50, v55, v31, v63
	s_waitcnt vmcnt(0)
	v_mul_f16_sdwa v6, v36, v26 dst_sel:DWORD dst_unused:UNUSED_PAD src0_sel:DWORD src1_sel:WORD_1
	v_mul_f16_sdwa v54, v13, v26 dst_sel:DWORD dst_unused:UNUSED_PAD src0_sel:DWORD src1_sel:WORD_1
	;; [unrolled: 1-line block ×4, first 2 shown]
	v_fma_f16 v61, v16, s1, v4
	v_fma_f16 v62, v16, s0, v4
	v_fma_f16 v4, v13, v26, -v6
	v_fma_f16 v13, v36, v26, v54
	v_fma_f16 v6, v7, v27, -v55
	v_fma_f16 v7, v33, v27, v59
	v_add_f16_e32 v16, v17, v19
	v_sub_f16_e32 v33, v18, v50
	v_add_f16_e32 v36, v51, v18
	v_add_f16_e32 v18, v18, v50
	v_fma_f16 v60, v58, s0, v14
	v_fma_f16 v58, v58, s1, v14
	v_add_f16_e32 v14, v15, v17
	v_sub_f16_e32 v17, v17, v19
	v_fma_f16 v15, v16, -0.5, v15
	v_add_f16_e32 v36, v36, v50
	v_fma_f16 v18, v18, -0.5, v51
	v_add_f16_e32 v50, v13, v7
	v_add_f16_e32 v54, v14, v19
	;; [unrolled: 1-line block ×3, first 2 shown]
	v_sub_f16_e32 v16, v4, v6
	v_fma_f16 v55, v33, s0, v15
	v_fma_f16 v15, v33, s1, v15
	;; [unrolled: 1-line block ×4, first 2 shown]
	v_fma_f16 v18, v50, -0.5, v35
	v_sub_f16_e32 v14, v13, v7
	v_fma_f16 v17, v19, -0.5, v12
	v_fma_f16 v51, v16, s0, v18
	s_movk_i32 s0, 0x5f
	v_fma_f16 v50, v14, s1, v17
	v_mov_b32_e32 v19, 0x120
	v_cmp_lt_u16_e64 s[0:1], s0, v20
	v_pack_b32_f16 v15, v15, v59
	v_pack_b32_f16 v36, v54, v36
	v_cndmask_b32_e64 v19, 0, v19, s[0:1]
	v_add_lshl_u32 v19, v52, v19, 2
	v_pack_b32_f16 v52, v56, v57
	v_pack_b32_f16 v56, v60, v61
	ds_write2_b32 v19, v52, v56 offset1:96
	v_pack_b32_f16 v52, v58, v62
	ds_write_b32 v19, v52 offset:768
	v_pack_b32_f16 v33, v55, v33
	ds_write_b32 v21, v15 offset:768
	v_lshlrev_b32_e32 v15, 2, v53
	ds_write2_b32 v21, v36, v33 offset1:96
	s_and_saveexec_b64 s[0:1], vcc
	s_cbranch_execz .LBB0_9
; %bb.8:
	v_mul_f16_e32 v14, 0x3aee, v14
	v_mul_f16_e32 v16, 0x3aee, v16
	v_add_f16_e32 v13, v35, v13
	v_add_f16_e32 v4, v12, v4
	v_sub_f16_e32 v16, v18, v16
	v_add_f16_e32 v14, v14, v17
	v_add_f16_e32 v7, v13, v7
	;; [unrolled: 1-line block ×3, first 2 shown]
	v_pack_b32_f16 v4, v4, v7
	v_pack_b32_f16 v6, v14, v16
	v_add_u32_e32 v7, 0xc00, v15
	s_mov_b32 s13, 0x5040100
	ds_write2_b32 v7, v4, v6 offset0:96 offset1:192
	v_perm_b32 v4, v51, v50, s13
	ds_write_b32 v15, v4 offset:4224
.LBB0_9:
	s_or_b64 exec, exec, s[0:1]
	v_mad_u64_u32 v[6:7], s[0:1], v20, 12, s[10:11]
	s_waitcnt lgkmcnt(0)
	s_barrier
	global_load_dwordx3 v[12:14], v[6:7], off offset:1136
	global_load_dwordx3 v[16:18], v[6:7], off offset:2864
	v_add_u32_e32 v33, 0x400, v45
	ds_read2_b32 v[6:7], v45 offset1:144
	v_add_u32_e32 v35, 0x800, v45
	v_add_u32_e32 v56, 0xc00, v45
	ds_read2_b32 v[36:37], v33 offset0:32 offset1:176
	ds_read2_b32 v[52:53], v35 offset0:64 offset1:208
	;; [unrolled: 1-line block ×3, first 2 shown]
	v_lshlrev_b32_e32 v4, 2, v20
	s_waitcnt lgkmcnt(3)
	v_lshrrev_b32_e32 v57, 16, v6
	s_waitcnt lgkmcnt(2)
	v_lshrrev_b32_e32 v59, 16, v36
	;; [unrolled: 2-line block ×4, first 2 shown]
	v_lshrrev_b32_e32 v62, 16, v37
	v_lshrrev_b32_e32 v63, 16, v53
	;; [unrolled: 1-line block ×4, first 2 shown]
	v_lshl_add_u64 v[4:5], s[8:9], 0, v[4:5]
	s_mov_b64 s[0:1], 0x1200
	s_waitcnt vmcnt(1)
	v_mul_f16_sdwa v65, v59, v12 dst_sel:DWORD dst_unused:UNUSED_PAD src0_sel:DWORD src1_sel:WORD_1
	v_mul_f16_sdwa v66, v36, v12 dst_sel:DWORD dst_unused:UNUSED_PAD src0_sel:DWORD src1_sel:WORD_1
	;; [unrolled: 1-line block ×6, first 2 shown]
	s_waitcnt vmcnt(0)
	v_mul_f16_sdwa v71, v62, v16 dst_sel:DWORD dst_unused:UNUSED_PAD src0_sel:DWORD src1_sel:WORD_1
	v_mul_f16_sdwa v72, v37, v16 dst_sel:DWORD dst_unused:UNUSED_PAD src0_sel:DWORD src1_sel:WORD_1
	;; [unrolled: 1-line block ×6, first 2 shown]
	v_fma_f16 v36, v36, v12, -v65
	v_fma_f16 v59, v59, v12, v66
	v_fma_f16 v52, v52, v13, -v67
	v_fma_f16 v60, v60, v13, v68
	;; [unrolled: 2-line block ×6, first 2 shown]
	v_sub_f16_e32 v52, v6, v52
	v_sub_f16_e32 v60, v57, v60
	;; [unrolled: 1-line block ×8, first 2 shown]
	v_fma_f16 v6, v6, 2.0, -v52
	v_fma_f16 v57, v57, 2.0, -v60
	;; [unrolled: 1-line block ×8, first 2 shown]
	v_sub_f16_e32 v61, v52, v61
	v_add_f16_e32 v54, v60, v54
	v_sub_f16_e32 v36, v6, v36
	v_sub_f16_e32 v59, v57, v59
	;; [unrolled: 1-line block ×5, first 2 shown]
	v_add_f16_e32 v55, v63, v55
	v_fma_f16 v52, v52, 2.0, -v61
	v_fma_f16 v60, v60, 2.0, -v54
	;; [unrolled: 1-line block ×8, first 2 shown]
	v_pack_b32_f16 v54, v61, v54
	v_pack_b32_f16 v52, v52, v60
	;; [unrolled: 1-line block ×5, first 2 shown]
	ds_write_b32 v45, v54 offset:3456
	ds_write_b32 v45, v52 offset:1152
	;; [unrolled: 1-line block ×3, first 2 shown]
	ds_write2_b32 v45, v6, v7 offset1:144
	v_pack_b32_f16 v6, v53, v63
	ds_write_b32 v45, v6 offset:1728
	v_pack_b32_f16 v6, v37, v62
	ds_write_b32 v45, v6 offset:2880
	;; [unrolled: 2-line block ×3, first 2 shown]
	v_lshl_add_u64 v[6:7], v[4:5], 0, s[0:1]
	s_movk_i32 s0, 0x1000
	v_add_co_u32_e64 v4, s[0:1], s0, v4
	s_waitcnt lgkmcnt(0)
	s_nop 0
	v_addc_co_u32_e64 v5, s[0:1], 0, v5, s[0:1]
	s_barrier
	global_load_dword v36, v[4:5], off offset:512
	global_load_dword v52, v[6:7], off offset:4032
	;; [unrolled: 1-line block ×8, first 2 shown]
	ds_read2_b32 v[4:5], v45 offset1:144
	v_add_u32_e32 v59, 0x200, v45
	v_add_u32_e32 v60, 0x600, v45
	;; [unrolled: 1-line block ×3, first 2 shown]
	s_waitcnt lgkmcnt(0)
	v_lshrrev_b32_e32 v6, 16, v4
	v_lshrrev_b32_e32 v7, 16, v5
	s_waitcnt vmcnt(7)
	v_mul_f16_sdwa v62, v6, v36 dst_sel:DWORD dst_unused:UNUSED_PAD src0_sel:DWORD src1_sel:WORD_1
	v_mul_f16_sdwa v63, v4, v36 dst_sel:DWORD dst_unused:UNUSED_PAD src0_sel:DWORD src1_sel:WORD_1
	v_fma_f16 v4, v4, v36, -v62
	v_fma_f16 v6, v6, v36, v63
	s_waitcnt vmcnt(3)
	v_mul_f16_sdwa v64, v7, v37 dst_sel:DWORD dst_unused:UNUSED_PAD src0_sel:DWORD src1_sel:WORD_1
	v_mul_f16_sdwa v65, v5, v37 dst_sel:DWORD dst_unused:UNUSED_PAD src0_sel:DWORD src1_sel:WORD_1
	v_pack_b32_f16 v4, v4, v6
	v_fma_f16 v36, v5, v37, -v64
	ds_write_b32 v45, v4
	v_fma_f16 v37, v7, v37, v65
	ds_read2_b32 v[4:5], v33 offset0:32 offset1:176
	ds_read2_b32 v[6:7], v35 offset0:64 offset1:208
	v_pack_b32_f16 v62, v36, v37
	ds_read2_b32 v[36:37], v56 offset0:96 offset1:240
	s_waitcnt lgkmcnt(2)
	v_lshrrev_b32_e32 v63, 16, v4
	s_waitcnt vmcnt(2)
	v_mul_f16_sdwa v64, v4, v55 dst_sel:DWORD dst_unused:UNUSED_PAD src0_sel:DWORD src1_sel:WORD_1
	s_waitcnt lgkmcnt(1)
	v_lshrrev_b32_e32 v65, 16, v6
	s_waitcnt vmcnt(1)
	v_mul_f16_sdwa v66, v6, v57 dst_sel:DWORD dst_unused:UNUSED_PAD src0_sel:DWORD src1_sel:WORD_1
	;; [unrolled: 4-line block ×3, first 2 shown]
	v_lshrrev_b32_e32 v69, 16, v5
	v_mul_f16_sdwa v70, v5, v54 dst_sel:DWORD dst_unused:UNUSED_PAD src0_sel:DWORD src1_sel:WORD_1
	v_lshrrev_b32_e32 v71, 16, v7
	v_mul_f16_sdwa v72, v7, v53 dst_sel:DWORD dst_unused:UNUSED_PAD src0_sel:DWORD src1_sel:WORD_1
	;; [unrolled: 2-line block ×3, first 2 shown]
	v_mul_f16_sdwa v75, v63, v55 dst_sel:DWORD dst_unused:UNUSED_PAD src0_sel:DWORD src1_sel:WORD_1
	v_fma_f16 v63, v63, v55, v64
	v_mul_f16_sdwa v64, v65, v57 dst_sel:DWORD dst_unused:UNUSED_PAD src0_sel:DWORD src1_sel:WORD_1
	v_fma_f16 v65, v65, v57, v66
	;; [unrolled: 2-line block ×6, first 2 shown]
	v_fma_f16 v4, v4, v55, -v75
	v_fma_f16 v6, v6, v57, -v64
	;; [unrolled: 1-line block ×6, first 2 shown]
	v_pack_b32_f16 v4, v4, v63
	v_pack_b32_f16 v6, v6, v65
	;; [unrolled: 1-line block ×6, first 2 shown]
	ds_write2_b32 v59, v62, v4 offset0:16 offset1:160
	ds_write2_b32 v60, v5, v6 offset0:48 offset1:192
	ds_write2_b32 v61, v7, v36 offset0:80 offset1:224
	ds_write_b32 v45, v37 offset:4032
	s_waitcnt lgkmcnt(0)
	s_barrier
	ds_read2_b32 v[4:5], v45 offset1:144
	ds_read2_b32 v[36:37], v33 offset0:32 offset1:176
	ds_read2_b32 v[6:7], v35 offset0:64 offset1:208
	;; [unrolled: 1-line block ×3, first 2 shown]
	s_waitcnt lgkmcnt(0)
	s_barrier
	v_pk_add_f16 v35, v5, v7 neg_lo:[0,1] neg_hi:[0,1]
	v_pk_add_f16 v7, v37, v53 neg_lo:[0,1] neg_hi:[0,1]
	;; [unrolled: 1-line block ×4, first 2 shown]
	v_pk_fma_f16 v57, v5, 2.0, v35 op_sel_hi:[1,0,1] neg_lo:[0,0,1] neg_hi:[0,0,1]
	v_pk_fma_f16 v5, v37, 2.0, v7 op_sel_hi:[1,0,1] neg_lo:[0,0,1] neg_hi:[0,0,1]
	;; [unrolled: 1-line block ×3, first 2 shown]
	v_pk_add_f16 v6, v57, v5 neg_lo:[0,1] neg_hi:[0,1]
	v_pk_fma_f16 v5, v36, 2.0, v53 op_sel_hi:[1,0,1] neg_lo:[0,0,1] neg_hi:[0,0,1]
	s_nop 0
	v_pk_add_f16 v54, v4, v5 neg_lo:[0,1] neg_hi:[0,1]
	v_lshrrev_b32_e32 v5, 16, v33
	v_pk_fma_f16 v52, v4, 2.0, v54 op_sel_hi:[1,0,1] neg_lo:[0,0,1] neg_hi:[0,0,1]
	v_add_f16_sdwa v4, v33, v53 dst_sel:DWORD dst_unused:UNUSED_PAD src0_sel:DWORD src1_sel:WORD_1
	v_sub_f16_e32 v36, v5, v53
	v_fma_f16 v33, v33, 2.0, -v4
	v_fma_f16 v5, v5, 2.0, -v36
	v_pack_b32_f16 v55, v4, v36
	v_pack_b32_f16 v53, v33, v5
	ds_write_b128 v32, v[52:55]
	v_pk_add_f16 v33, v35, v7 op_sel:[0,1] op_sel_hi:[1,0]
	v_pk_add_f16 v32, v35, v7 op_sel:[0,1] op_sel_hi:[1,0] neg_lo:[0,1] neg_hi:[0,1]
	v_pk_fma_f16 v4, v57, 2.0, v6 op_sel_hi:[1,0,1] neg_lo:[0,0,1] neg_hi:[0,0,1]
	v_bfi_b32 v7, s12, v33, v32
	v_pk_fma_f16 v5, v35, 2.0, v7 op_sel_hi:[1,0,1] neg_lo:[0,0,1] neg_hi:[0,0,1]
	ds_write_b128 v34, v[4:7]
	s_waitcnt lgkmcnt(0)
	s_barrier
	ds_read2_b32 v[4:5], v45 offset1:144
	ds_read2_b32 v[36:37], v60 offset1:144
	;; [unrolled: 1-line block ×3, first 2 shown]
	v_lshrrev_b32_e32 v52, 16, v32
	s_and_saveexec_b64 s[0:1], vcc
	s_cbranch_execz .LBB0_11
; %bb.10:
	v_add_u32_e32 v6, 0x80, v45
	ds_read_b32 v50, v45 offset:4224
	ds_read2st64_b32 v[32:33], v6 offset0:4 offset1:10
	s_waitcnt lgkmcnt(1)
	v_lshrrev_b32_e32 v51, 16, v50
	s_waitcnt lgkmcnt(0)
	v_lshrrev_b32_e32 v52, 16, v33
	v_mov_b32_e32 v6, v32
.LBB0_11:
	s_or_b64 exec, exec, s[0:1]
	s_waitcnt lgkmcnt(1)
	v_lshrrev_b32_e32 v7, 16, v36
	v_mul_f16_sdwa v57, v24, v7 dst_sel:DWORD dst_unused:UNUSED_PAD src0_sel:WORD_1 src1_sel:DWORD
	s_waitcnt lgkmcnt(0)
	v_lshrrev_b32_e32 v32, 16, v34
	v_fma_f16 v57, v24, v36, v57
	v_mul_f16_sdwa v36, v24, v36 dst_sel:DWORD dst_unused:UNUSED_PAD src0_sel:WORD_1 src1_sel:DWORD
	v_fma_f16 v36, v24, v7, -v36
	v_mul_f16_sdwa v7, v25, v32 dst_sel:DWORD dst_unused:UNUSED_PAD src0_sel:WORD_1 src1_sel:DWORD
	v_lshrrev_b32_e32 v55, 16, v37
	v_fma_f16 v58, v25, v34, v7
	v_mul_f16_sdwa v7, v25, v34 dst_sel:DWORD dst_unused:UNUSED_PAD src0_sel:WORD_1 src1_sel:DWORD
	v_fma_f16 v59, v25, v32, -v7
	v_mul_f16_sdwa v7, v24, v55 dst_sel:DWORD dst_unused:UNUSED_PAD src0_sel:WORD_1 src1_sel:DWORD
	;; [unrolled: 5-line block ×3, first 2 shown]
	v_fma_f16 v55, v25, v35, v7
	v_mul_f16_sdwa v7, v25, v35 dst_sel:DWORD dst_unused:UNUSED_PAD src0_sel:WORD_1 src1_sel:DWORD
	v_fma_f16 v35, v25, v56, -v7
	v_mul_f16_sdwa v7, v24, v52 dst_sel:DWORD dst_unused:UNUSED_PAD src0_sel:WORD_1 src1_sel:DWORD
	v_mul_f16_sdwa v32, v24, v33 dst_sel:DWORD dst_unused:UNUSED_PAD src0_sel:WORD_1 src1_sel:DWORD
	v_fma_f16 v7, v24, v33, v7
	v_fma_f16 v33, v24, v52, -v32
	v_mul_f16_sdwa v24, v25, v51 dst_sel:DWORD dst_unused:UNUSED_PAD src0_sel:WORD_1 src1_sel:DWORD
	v_fma_f16 v32, v25, v50, v24
	v_mul_f16_sdwa v24, v25, v50 dst_sel:DWORD dst_unused:UNUSED_PAD src0_sel:WORD_1 src1_sel:DWORD
	v_fma_f16 v34, v25, v51, -v24
	v_add_f16_e32 v24, v4, v57
	v_add_f16_e32 v50, v24, v58
	;; [unrolled: 1-line block ×3, first 2 shown]
	v_lshrrev_b32_e32 v53, 16, v4
	v_fma_f16 v4, v24, -0.5, v4
	v_sub_f16_e32 v24, v36, v59
	s_mov_b32 s0, 0xbaee
	s_movk_i32 s1, 0x3aee
	v_fma_f16 v51, v24, s0, v4
	v_fma_f16 v52, v24, s1, v4
	v_add_f16_e32 v4, v53, v36
	v_add_f16_e32 v56, v4, v59
	;; [unrolled: 1-line block ×3, first 2 shown]
	v_fma_f16 v4, v4, -0.5, v53
	v_sub_f16_e32 v24, v57, v58
	v_fma_f16 v53, v24, s1, v4
	v_fma_f16 v57, v24, s0, v4
	v_add_f16_e32 v4, v5, v60
	v_add_f16_e32 v58, v4, v55
	;; [unrolled: 1-line block ×3, first 2 shown]
	v_lshrrev_b32_e32 v54, 16, v5
	v_fma_f16 v4, v4, -0.5, v5
	v_sub_f16_e32 v5, v37, v35
	v_fma_f16 v59, v5, s0, v4
	v_fma_f16 v61, v5, s1, v4
	v_add_f16_e32 v4, v54, v37
	v_add_f16_e32 v62, v4, v35
	;; [unrolled: 1-line block ×3, first 2 shown]
	v_fma_f16 v4, v4, -0.5, v54
	v_sub_f16_e32 v5, v60, v55
	v_pack_b32_f16 v50, v50, v56
	v_pack_b32_f16 v51, v51, v53
	v_fma_f16 v54, v5, s1, v4
	v_fma_f16 v55, v5, s0, v4
	v_add_f16_e32 v4, v32, v7
	v_add_f16_e32 v25, v34, v33
	v_lshrrev_b32_e32 v5, 16, v6
	s_barrier
	ds_write2_b32 v47, v50, v51 offset1:4
	v_pack_b32_f16 v50, v52, v57
	v_fma_f16 v4, v4, -0.5, v6
	v_sub_f16_e32 v35, v33, v34
	v_fma_f16 v36, v25, -0.5, v5
	v_sub_f16_e32 v37, v7, v32
	ds_write_b32 v47, v50 offset:32
	v_pack_b32_f16 v47, v58, v62
	v_pack_b32_f16 v50, v59, v54
	v_fma_f16 v24, v35, s1, v4
	v_fma_f16 v25, v37, s0, v36
	ds_write2_b32 v48, v47, v50 offset1:4
	v_pack_b32_f16 v47, v61, v55
	ds_write_b32 v48, v47 offset:32
	s_and_saveexec_b64 s[0:1], vcc
	s_cbranch_execz .LBB0_13
; %bb.12:
	v_mul_f16_e32 v35, 0x3aee, v35
	v_mul_f16_e32 v37, 0x3aee, v37
	v_add_f16_e32 v5, v33, v5
	v_add_f16_e32 v6, v6, v7
	v_mul_u32_u24_e32 v7, 12, v11
	v_add_f16_e32 v36, v37, v36
	v_sub_f16_e32 v4, v4, v35
	v_add_f16_e32 v5, v34, v5
	v_add_f16_e32 v6, v32, v6
	v_or_b32_e32 v7, v7, v46
	v_lshlrev_b32_e32 v7, 2, v7
	v_pack_b32_f16 v5, v6, v5
	v_pack_b32_f16 v4, v4, v36
	s_mov_b32 s8, 0x5040100
	ds_write2_b32 v7, v5, v4 offset1:4
	v_perm_b32 v4, v25, v24, s8
	ds_write_b32 v7, v4 offset:32
.LBB0_13:
	s_or_b64 exec, exec, s[0:1]
	s_waitcnt lgkmcnt(0)
	s_barrier
	ds_read2_b32 v[4:5], v45 offset1:144
	v_add_u32_e32 v6, 0x400, v45
	ds_read2_b32 v[6:7], v6 offset0:32 offset1:176
	v_add_u32_e32 v32, 0x800, v45
	ds_read2_b32 v[32:33], v32 offset0:64 offset1:208
	s_waitcnt lgkmcnt(2)
	v_lshrrev_b32_e32 v36, 16, v5
	v_mul_f16_sdwa v53, v0, v36 dst_sel:DWORD dst_unused:UNUSED_PAD src0_sel:WORD_1 src1_sel:DWORD
	s_waitcnt lgkmcnt(1)
	v_lshrrev_b32_e32 v46, 16, v6
	v_fma_f16 v53, v0, v5, v53
	v_mul_f16_sdwa v5, v0, v5 dst_sel:DWORD dst_unused:UNUSED_PAD src0_sel:WORD_1 src1_sel:DWORD
	v_fma_f16 v0, v0, v36, -v5
	v_mul_f16_sdwa v5, v1, v46 dst_sel:DWORD dst_unused:UNUSED_PAD src0_sel:WORD_1 src1_sel:DWORD
	v_add_u32_e32 v37, 0xc00, v45
	v_lshrrev_b32_e32 v47, 16, v7
	v_fma_f16 v5, v1, v6, v5
	v_mul_f16_sdwa v6, v1, v6 dst_sel:DWORD dst_unused:UNUSED_PAD src0_sel:WORD_1 src1_sel:DWORD
	ds_read2_b32 v[34:35], v37 offset0:96 offset1:240
	v_fma_f16 v1, v1, v46, -v6
	v_mul_f16_sdwa v6, v2, v47 dst_sel:DWORD dst_unused:UNUSED_PAD src0_sel:WORD_1 src1_sel:DWORD
	s_waitcnt lgkmcnt(1)
	v_lshrrev_b32_e32 v48, 16, v32
	v_fma_f16 v6, v2, v7, v6
	v_mul_f16_sdwa v7, v2, v7 dst_sel:DWORD dst_unused:UNUSED_PAD src0_sel:WORD_1 src1_sel:DWORD
	v_fma_f16 v2, v2, v47, -v7
	v_mul_f16_sdwa v7, v3, v48 dst_sel:DWORD dst_unused:UNUSED_PAD src0_sel:WORD_1 src1_sel:DWORD
	v_lshrrev_b32_e32 v50, 16, v33
	v_fma_f16 v7, v3, v32, v7
	v_mul_f16_sdwa v32, v3, v32 dst_sel:DWORD dst_unused:UNUSED_PAD src0_sel:WORD_1 src1_sel:DWORD
	v_fma_f16 v3, v3, v48, -v32
	v_mul_f16_sdwa v32, v8, v50 dst_sel:DWORD dst_unused:UNUSED_PAD src0_sel:WORD_1 src1_sel:DWORD
	s_waitcnt lgkmcnt(0)
	v_lshrrev_b32_e32 v51, 16, v34
	v_fma_f16 v32, v8, v33, v32
	v_mul_f16_sdwa v33, v8, v33 dst_sel:DWORD dst_unused:UNUSED_PAD src0_sel:WORD_1 src1_sel:DWORD
	v_fma_f16 v8, v8, v50, -v33
	v_mul_f16_sdwa v33, v9, v51 dst_sel:DWORD dst_unused:UNUSED_PAD src0_sel:WORD_1 src1_sel:DWORD
	v_lshrrev_b32_e32 v52, 16, v35
	v_fma_f16 v33, v9, v34, v33
	v_mul_f16_sdwa v34, v9, v34 dst_sel:DWORD dst_unused:UNUSED_PAD src0_sel:WORD_1 src1_sel:DWORD
	v_fma_f16 v9, v9, v51, -v34
	v_mul_f16_sdwa v34, v10, v52 dst_sel:DWORD dst_unused:UNUSED_PAD src0_sel:WORD_1 src1_sel:DWORD
	v_fma_f16 v34, v10, v35, v34
	v_mul_f16_sdwa v35, v10, v35 dst_sel:DWORD dst_unused:UNUSED_PAD src0_sel:WORD_1 src1_sel:DWORD
	v_lshrrev_b32_e32 v11, 16, v4
	v_fma_f16 v10, v10, v52, -v35
	v_sub_f16_e32 v3, v11, v3
	v_sub_f16_e32 v9, v1, v9
	;; [unrolled: 1-line block ×5, first 2 shown]
	v_fma_f16 v11, v11, 2.0, -v3
	v_sub_f16_e32 v33, v5, v33
	v_fma_f16 v1, v1, 2.0, -v9
	v_sub_f16_e32 v32, v53, v32
	;; [unrolled: 2-line block ×3, first 2 shown]
	v_fma_f16 v2, v2, 2.0, -v10
	v_fma_f16 v4, v4, 2.0, -v7
	;; [unrolled: 1-line block ×5, first 2 shown]
	v_sub_f16_e32 v1, v11, v1
	v_add_f16_e32 v36, v7, v9
	v_sub_f16_e32 v2, v0, v2
	v_add_f16_e32 v10, v32, v10
	v_sub_f16_e32 v5, v4, v5
	v_fma_f16 v11, v11, 2.0, -v1
	v_sub_f16_e32 v33, v3, v33
	v_fma_f16 v7, v7, 2.0, -v36
	;; [unrolled: 2-line block ×4, first 2 shown]
	s_mov_b32 s0, 0xb9a8
	v_fma_f16 v4, v4, 2.0, -v5
	v_fma_f16 v3, v3, 2.0, -v33
	;; [unrolled: 1-line block ×4, first 2 shown]
	v_sub_f16_e32 v46, v11, v0
	v_fma_f16 v0, v32, s0, v7
	s_movk_i32 s1, 0x39a8
	v_sub_f16_e32 v35, v4, v9
	v_fma_f16 v9, v8, s0, v3
	v_fma_f16 v47, v8, s1, v0
	v_add_f16_e32 v0, v5, v2
	v_sub_f16_e32 v8, v1, v6
	v_fma_f16 v32, v32, s0, v9
	v_fma_f16 v2, v5, 2.0, -v0
	v_fma_f16 v5, v1, 2.0, -v8
	v_fma_f16 v1, v10, s1, v36
	v_fma_f16 v6, v34, s1, v33
	v_fma_f16 v4, v4, 2.0, -v35
	v_fma_f16 v11, v11, 2.0, -v46
	;; [unrolled: 1-line block ×4, first 2 shown]
	v_fma_f16 v1, v34, s1, v1
	v_fma_f16 v9, v10, s0, v6
	v_fma_f16 v6, v36, 2.0, -v1
	v_fma_f16 v10, v33, 2.0, -v9
	v_pack_b32_f16 v4, v4, v11
	v_pack_b32_f16 v3, v7, v3
	s_barrier
	ds_write2_b32 v49, v4, v3 offset1:12
	v_pack_b32_f16 v2, v2, v5
	v_pack_b32_f16 v3, v6, v10
	ds_write2_b32 v49, v2, v3 offset0:24 offset1:36
	v_pack_b32_f16 v2, v35, v46
	v_pack_b32_f16 v3, v47, v32
	ds_write2_b32 v49, v2, v3 offset0:48 offset1:60
	v_pack_b32_f16 v2, v0, v8
	v_pack_b32_f16 v3, v1, v9
	v_add_u32_e32 v4, 0x600, v45
	ds_write2_b32 v49, v2, v3 offset0:72 offset1:84
	s_waitcnt lgkmcnt(0)
	s_barrier
	ds_read2_b32 v[2:3], v45 offset1:144
	ds_read2_b32 v[6:7], v4 offset1:144
	;; [unrolled: 1-line block ×3, first 2 shown]
	s_and_saveexec_b64 s[0:1], vcc
	s_cbranch_execz .LBB0_15
; %bb.14:
	v_add_u32_e32 v0, 0x80, v45
	ds_read2st64_b32 v[0:1], v0 offset0:4 offset1:10
	ds_read_b32 v24, v45 offset:4224
	s_waitcnt lgkmcnt(1)
	v_lshrrev_b32_e32 v8, 16, v0
	v_lshrrev_b32_e32 v9, 16, v1
	s_waitcnt lgkmcnt(0)
	v_lshrrev_b32_e32 v25, 16, v24
.LBB0_15:
	s_or_b64 exec, exec, s[0:1]
	s_waitcnt lgkmcnt(1)
	v_lshrrev_b32_e32 v11, 16, v6
	v_mul_f16_sdwa v36, v28, v11 dst_sel:DWORD dst_unused:UNUSED_PAD src0_sel:WORD_1 src1_sel:DWORD
	s_waitcnt lgkmcnt(0)
	v_lshrrev_b32_e32 v32, 16, v4
	v_fma_f16 v36, v28, v6, v36
	v_mul_f16_sdwa v6, v28, v6 dst_sel:DWORD dst_unused:UNUSED_PAD src0_sel:WORD_1 src1_sel:DWORD
	v_fma_f16 v6, v28, v11, -v6
	v_mul_f16_sdwa v11, v29, v32 dst_sel:DWORD dst_unused:UNUSED_PAD src0_sel:WORD_1 src1_sel:DWORD
	v_lshrrev_b32_e32 v35, 16, v5
	v_fma_f16 v11, v29, v4, v11
	v_mul_f16_sdwa v4, v29, v4 dst_sel:DWORD dst_unused:UNUSED_PAD src0_sel:WORD_1 src1_sel:DWORD
	v_lshrrev_b32_e32 v34, 16, v7
	v_fma_f16 v4, v29, v32, -v4
	v_mul_f16_sdwa v29, v31, v35 dst_sel:DWORD dst_unused:UNUSED_PAD src0_sel:WORD_1 src1_sel:DWORD
	v_mul_f16_sdwa v28, v30, v34 dst_sel:DWORD dst_unused:UNUSED_PAD src0_sel:WORD_1 src1_sel:DWORD
	v_fma_f16 v29, v31, v5, v29
	v_mul_f16_sdwa v5, v31, v5 dst_sel:DWORD dst_unused:UNUSED_PAD src0_sel:WORD_1 src1_sel:DWORD
	v_fma_f16 v28, v30, v7, v28
	v_mul_f16_sdwa v7, v30, v7 dst_sel:DWORD dst_unused:UNUSED_PAD src0_sel:WORD_1 src1_sel:DWORD
	v_fma_f16 v5, v31, v35, -v5
	v_add_f16_e32 v31, v36, v11
	v_lshrrev_b32_e32 v10, 16, v2
	v_fma_f16 v7, v30, v34, -v7
	v_add_f16_e32 v30, v2, v36
	v_fma_f16 v2, v31, -0.5, v2
	v_sub_f16_e32 v31, v6, v4
	s_mov_b32 s8, 0xbaee
	s_movk_i32 s9, 0x3aee
	v_fma_f16 v32, v31, s8, v2
	v_fma_f16 v2, v31, s9, v2
	v_add_f16_e32 v31, v10, v6
	v_add_f16_e32 v31, v31, v4
	;; [unrolled: 1-line block ×4, first 2 shown]
	v_fma_f16 v4, v4, -0.5, v10
	v_sub_f16_e32 v6, v36, v11
	v_add_f16_e32 v11, v28, v29
	v_lshrrev_b32_e32 v33, 16, v3
	v_fma_f16 v10, v6, s9, v4
	v_fma_f16 v4, v6, s8, v4
	v_add_f16_e32 v6, v3, v28
	v_fma_f16 v3, v11, -0.5, v3
	v_sub_f16_e32 v11, v7, v5
	v_fma_f16 v34, v11, s8, v3
	v_fma_f16 v3, v11, s9, v3
	v_add_f16_e32 v11, v33, v7
	v_add_f16_e32 v11, v11, v5
	v_add_f16_e32 v5, v7, v5
	v_fma_f16 v5, v5, -0.5, v33
	v_sub_f16_e32 v7, v28, v29
	v_add_f16_e32 v6, v6, v29
	v_fma_f16 v28, v7, s9, v5
	v_pack_b32_f16 v2, v2, v4
	v_fma_f16 v5, v7, s8, v5
	s_barrier
	v_pack_b32_f16 v7, v30, v31
	v_pack_b32_f16 v10, v32, v10
	ds_write_b32 v19, v2 offset:768
	v_pack_b32_f16 v2, v6, v11
	v_pack_b32_f16 v4, v34, v28
	ds_write2_b32 v19, v7, v10 offset1:96
	ds_write2_b32 v21, v2, v4 offset1:96
	v_pack_b32_f16 v2, v3, v5
	ds_write_b32 v21, v2 offset:768
	s_and_saveexec_b64 s[0:1], vcc
	s_cbranch_execz .LBB0_17
; %bb.16:
	v_mul_f16_sdwa v2, v26, v9 dst_sel:DWORD dst_unused:UNUSED_PAD src0_sel:WORD_1 src1_sel:DWORD
	v_fma_f16 v2, v26, v1, v2
	v_mul_f16_sdwa v3, v27, v25 dst_sel:DWORD dst_unused:UNUSED_PAD src0_sel:WORD_1 src1_sel:DWORD
	v_mul_f16_sdwa v1, v26, v1 dst_sel:DWORD dst_unused:UNUSED_PAD src0_sel:WORD_1 src1_sel:DWORD
	;; [unrolled: 1-line block ×3, first 2 shown]
	v_fma_f16 v3, v27, v24, v3
	v_fma_f16 v1, v26, v9, -v1
	v_fma_f16 v5, v27, v25, -v5
	v_add_f16_e32 v6, v5, v1
	v_add_f16_e32 v9, v3, v2
	v_sub_f16_e32 v4, v2, v3
	v_fma_f16 v6, v6, -0.5, v8
	v_fma_f16 v9, v9, -0.5, v0
	v_sub_f16_e32 v10, v1, v5
	v_add_f16_e32 v1, v1, v8
	v_add_f16_e32 v0, v0, v2
	v_fma_f16 v7, v4, s9, v6
	v_fma_f16 v11, v10, s8, v9
	v_add_f16_e32 v1, v5, v1
	v_add_f16_e32 v0, v3, v0
	v_fma_f16 v2, v4, s8, v6
	v_fma_f16 v3, v10, s9, v9
	v_pack_b32_f16 v0, v0, v1
	v_pack_b32_f16 v1, v11, v7
	v_add_u32_e32 v4, 0xc00, v15
	ds_write2_b32 v4, v0, v1 offset0:96 offset1:192
	v_pack_b32_f16 v0, v3, v2
	ds_write_b32 v15, v0 offset:4224
.LBB0_17:
	s_or_b64 exec, exec, s[0:1]
	v_add_u32_e32 v9, 0x400, v45
	s_waitcnt lgkmcnt(0)
	s_barrier
	ds_read2_b32 v[2:3], v9 offset0:32 offset1:176
	v_add_u32_e32 v15, 0x800, v45
	ds_read2_b32 v[4:5], v15 offset0:64 offset1:208
	v_add_u32_e32 v19, 0xc00, v45
	ds_read2_b32 v[6:7], v19 offset0:96 offset1:240
	s_waitcnt lgkmcnt(2)
	v_lshrrev_b32_e32 v11, 16, v2
	v_mul_f16_sdwa v29, v12, v11 dst_sel:DWORD dst_unused:UNUSED_PAD src0_sel:WORD_1 src1_sel:DWORD
	s_waitcnt lgkmcnt(1)
	v_lshrrev_b32_e32 v21, 16, v4
	v_fma_f16 v29, v12, v2, v29
	v_mul_f16_sdwa v2, v12, v2 dst_sel:DWORD dst_unused:UNUSED_PAD src0_sel:WORD_1 src1_sel:DWORD
	v_fma_f16 v2, v12, v11, -v2
	v_mul_f16_sdwa v11, v13, v21 dst_sel:DWORD dst_unused:UNUSED_PAD src0_sel:WORD_1 src1_sel:DWORD
	ds_read2_b32 v[0:1], v45 offset1:144
	s_waitcnt lgkmcnt(1)
	v_lshrrev_b32_e32 v24, 16, v6
	v_lshrrev_b32_e32 v26, 16, v3
	v_fma_f16 v11, v13, v4, v11
	v_mul_f16_sdwa v4, v13, v4 dst_sel:DWORD dst_unused:UNUSED_PAD src0_sel:WORD_1 src1_sel:DWORD
	v_fma_f16 v4, v13, v21, -v4
	v_mul_f16_sdwa v12, v14, v24 dst_sel:DWORD dst_unused:UNUSED_PAD src0_sel:WORD_1 src1_sel:DWORD
	v_mul_f16_sdwa v13, v16, v26 dst_sel:DWORD dst_unused:UNUSED_PAD src0_sel:WORD_1 src1_sel:DWORD
	v_lshrrev_b32_e32 v27, 16, v5
	v_lshrrev_b32_e32 v28, 16, v7
	v_fma_f16 v12, v14, v6, v12
	v_mul_f16_sdwa v6, v14, v6 dst_sel:DWORD dst_unused:UNUSED_PAD src0_sel:WORD_1 src1_sel:DWORD
	v_fma_f16 v13, v16, v3, v13
	v_mul_f16_sdwa v3, v16, v3 dst_sel:DWORD dst_unused:UNUSED_PAD src0_sel:WORD_1 src1_sel:DWORD
	v_fma_f16 v6, v14, v24, -v6
	v_fma_f16 v3, v16, v26, -v3
	v_mul_f16_sdwa v14, v17, v27 dst_sel:DWORD dst_unused:UNUSED_PAD src0_sel:WORD_1 src1_sel:DWORD
	v_mul_f16_sdwa v16, v18, v28 dst_sel:DWORD dst_unused:UNUSED_PAD src0_sel:WORD_1 src1_sel:DWORD
	v_fma_f16 v14, v17, v5, v14
	v_mul_f16_sdwa v5, v17, v5 dst_sel:DWORD dst_unused:UNUSED_PAD src0_sel:WORD_1 src1_sel:DWORD
	v_fma_f16 v16, v18, v7, v16
	v_mul_f16_sdwa v7, v18, v7 dst_sel:DWORD dst_unused:UNUSED_PAD src0_sel:WORD_1 src1_sel:DWORD
	s_waitcnt lgkmcnt(0)
	v_lshrrev_b32_e32 v8, 16, v0
	v_lshrrev_b32_e32 v25, 16, v1
	v_fma_f16 v5, v17, v27, -v5
	v_fma_f16 v7, v18, v28, -v7
	v_sub_f16_e32 v11, v0, v11
	v_sub_f16_e32 v4, v8, v4
	;; [unrolled: 1-line block ×8, first 2 shown]
	v_fma_f16 v0, v0, 2.0, -v11
	v_fma_f16 v8, v8, 2.0, -v4
	;; [unrolled: 1-line block ×8, first 2 shown]
	v_sub_f16_e32 v17, v0, v17
	v_sub_f16_e32 v2, v8, v2
	v_add_f16_e32 v6, v11, v6
	v_sub_f16_e32 v12, v4, v12
	v_sub_f16_e32 v13, v1, v13
	;; [unrolled: 1-line block ×3, first 2 shown]
	v_fma_f16 v0, v0, 2.0, -v17
	v_fma_f16 v8, v8, 2.0, -v2
	;; [unrolled: 1-line block ×6, first 2 shown]
	v_add_f16_e32 v7, v14, v7
	v_sub_f16_e32 v16, v5, v16
	v_pack_b32_f16 v2, v17, v2
	v_fma_f16 v14, v14, 2.0, -v7
	v_fma_f16 v5, v5, 2.0, -v16
	v_pack_b32_f16 v0, v0, v8
	v_pack_b32_f16 v4, v11, v4
	ds_write_b32 v45, v2 offset:2304
	v_pack_b32_f16 v2, v6, v12
	v_pack_b32_f16 v1, v1, v18
	ds_write_b32 v45, v4 offset:1152
	ds_write_b32 v45, v2 offset:3456
	ds_write2_b32 v45, v0, v1 offset1:144
	v_pack_b32_f16 v0, v14, v5
	ds_write_b32 v45, v0 offset:1728
	v_pack_b32_f16 v0, v13, v3
	ds_write_b32 v45, v0 offset:2880
	v_pack_b32_f16 v0, v7, v16
	ds_write_b32 v45, v0 offset:4032
	s_waitcnt lgkmcnt(0)
	s_barrier
	ds_read2_b32 v[0:1], v45 offset1:144
	v_mad_u64_u32 v[4:5], s[0:1], s6, v22, 0
	v_mov_b32_e32 v2, v5
	v_mov_b32_e32 v10, s2
	s_waitcnt lgkmcnt(0)
	v_lshrrev_b32_e32 v6, 16, v0
	v_mul_f16_sdwa v3, v44, v6 dst_sel:DWORD dst_unused:UNUSED_PAD src0_sel:WORD_1 src1_sel:DWORD
	v_fma_f16 v3, v44, v0, v3
	v_cvt_f32_f16_e32 v7, v3
	v_mov_b32_e32 v11, s3
	v_mad_u64_u32 v[2:3], s[0:1], s7, v22, v[2:3]
	s_mov_b32 s2, 0x1c71c71c
	v_mov_b32_e32 v5, v2
	v_cvt_f64_f32_e32 v[2:3], v7
	s_mov_b32 s3, 0x3f4c71c7
	v_mul_f64 v[2:3], v[2:3], s[2:3]
	s_movk_i32 s6, 0x1ff
	v_and_or_b32 v2, v3, s6, v2
	v_cmp_ne_u32_e32 vcc, 0, v2
	v_lshrrev_b32_e32 v7, 8, v3
	s_movk_i32 s7, 0xffe
	v_cndmask_b32_e64 v2, 0, 1, vcc
	v_bfe_u32 v8, v3, 20, 11
	v_and_or_b32 v2, v7, s7, v2
	v_sub_u32_e32 v12, 0x3f1, v8
	v_or_b32_e32 v7, 0x1000, v2
	v_med3_i32 v12, v12, 0, 13
	v_lshrrev_b32_e32 v13, v12, v7
	v_lshlrev_b32_e32 v12, v12, v13
	v_cmp_ne_u32_e32 vcc, v12, v7
	v_add_u32_e32 v12, 0xfffffc10, v8
	v_lshl_or_b32 v8, v12, 12, v2
	v_cndmask_b32_e64 v7, 0, 1, vcc
	v_or_b32_e32 v7, v13, v7
	v_cmp_gt_i32_e32 vcc, 1, v12
	v_mul_f16_sdwa v0, v44, v0 dst_sel:DWORD dst_unused:UNUSED_PAD src0_sel:WORD_1 src1_sel:DWORD
	v_fma_f16 v0, v44, v6, -v0
	v_cndmask_b32_e32 v7, v8, v7, vcc
	v_and_b32_e32 v8, 7, v7
	v_cmp_lt_i32_e32 vcc, 5, v8
	v_cmp_eq_u32_e64 s[0:1], 3, v8
	v_lshrrev_b32_e32 v7, 2, v7
	s_or_b64 vcc, s[0:1], vcc
	v_addc_co_u32_e32 v7, vcc, 0, v7, vcc
	v_mov_b32_e32 v8, 0x7c00
	v_cmp_gt_i32_e32 vcc, 31, v12
	v_cvt_f32_f16_e32 v0, v0
	s_movk_i32 s8, 0x40f
	v_cndmask_b32_e32 v7, v8, v7, vcc
	v_cmp_ne_u32_e32 vcc, 0, v2
	s_mov_b32 s9, 0x8000
	v_and_b32_sdwa v16, v3, s9 dst_sel:DWORD dst_unused:UNUSED_PAD src0_sel:WORD_1 src1_sel:DWORD
	v_cndmask_b32_e64 v2, 0, 1, vcc
	v_lshl_or_b32 v2, v2, 9, v8
	v_cmp_eq_u32_e32 vcc, s8, v12
	s_mov_b32 s10, 0xffff
	v_lshl_add_u64 v[4:5], v[4:5], 2, v[10:11]
	v_cndmask_b32_e32 v14, v7, v2, vcc
	v_cvt_f64_f32_e32 v[2:3], v0
	v_mul_f64 v[2:3], v[2:3], s[2:3]
	v_and_or_b32 v0, v3, s6, v2
	v_cmp_ne_u32_e32 vcc, 0, v0
	v_lshrrev_b32_e32 v2, 8, v3
	v_bfe_u32 v6, v3, 20, 11
	v_cndmask_b32_e64 v0, 0, 1, vcc
	v_and_or_b32 v0, v2, s7, v0
	v_sub_u32_e32 v7, 0x3f1, v6
	v_or_b32_e32 v2, 0x1000, v0
	v_med3_i32 v7, v7, 0, 13
	v_lshrrev_b32_e32 v12, v7, v2
	v_lshlrev_b32_e32 v7, v7, v12
	v_cmp_ne_u32_e32 vcc, v7, v2
	v_add_u32_e32 v6, 0xfffffc10, v6
	v_lshl_or_b32 v7, v6, 12, v0
	v_cndmask_b32_e64 v2, 0, 1, vcc
	v_or_b32_e32 v2, v12, v2
	v_cmp_gt_i32_e32 vcc, 1, v6
	s_mul_i32 s11, s5, 0x480
	s_nop 0
	v_cndmask_b32_e32 v2, v7, v2, vcc
	v_and_b32_e32 v7, 7, v2
	v_cmp_lt_i32_e32 vcc, 5, v7
	v_cmp_eq_u32_e64 s[0:1], 3, v7
	v_lshrrev_b32_e32 v2, 2, v2
	s_or_b64 vcc, s[0:1], vcc
	v_addc_co_u32_e32 v2, vcc, 0, v2, vcc
	v_cmp_gt_i32_e32 vcc, 31, v6
	s_nop 1
	v_cndmask_b32_e32 v2, v8, v2, vcc
	v_cmp_ne_u32_e32 vcc, 0, v0
	s_nop 1
	v_cndmask_b32_e64 v0, 0, 1, vcc
	v_lshl_or_b32 v0, v0, 9, v8
	v_cmp_eq_u32_e32 vcc, s8, v6
	v_mad_u64_u32 v[6:7], s[0:1], s4, v20, 0
	s_nop 0
	v_cndmask_b32_e32 v0, v2, v0, vcc
	v_lshrrev_b32_e32 v2, 16, v3
	v_and_or_b32 v17, v2, s9, v0
	ds_read2_b32 v[2:3], v9 offset0:32 offset1:176
	v_mov_b32_e32 v0, v7
	v_mad_u64_u32 v[12:13], s[0:1], s5, v20, v[0:1]
	v_mov_b32_e32 v7, v12
	s_waitcnt lgkmcnt(0)
	v_lshrrev_b32_e32 v9, 16, v2
	v_mul_f16_sdwa v12, v43, v9 dst_sel:DWORD dst_unused:UNUSED_PAD src0_sel:WORD_1 src1_sel:DWORD
	v_fma_f16 v12, v43, v2, v12
	v_cvt_f32_f16_e32 v12, v12
	v_bitop3_b32 v0, v16, s10, v14 bitop3:0xc8
	v_lshl_add_u64 v[6:7], v[6:7], 2, v[4:5]
	v_lshl_or_b32 v0, v17, 16, v0
	v_cvt_f64_f32_e32 v[4:5], v12
	v_mul_f64 v[4:5], v[4:5], s[2:3]
	global_store_dword v[6:7], v0, off
	v_and_or_b32 v0, v5, s6, v4
	v_cmp_ne_u32_e32 vcc, 0, v0
	v_lshrrev_b32_e32 v4, 8, v5
	v_bfe_u32 v10, v5, 20, 11
	v_cndmask_b32_e64 v0, 0, 1, vcc
	v_and_or_b32 v0, v4, s7, v0
	v_sub_u32_e32 v11, 0x3f1, v10
	v_or_b32_e32 v4, 0x1000, v0
	v_med3_i32 v11, v11, 0, 13
	v_lshrrev_b32_e32 v12, v11, v4
	v_lshlrev_b32_e32 v11, v11, v12
	v_cmp_ne_u32_e32 vcc, v11, v4
	v_add_u32_e32 v10, 0xfffffc10, v10
	v_lshl_or_b32 v11, v10, 12, v0
	v_cndmask_b32_e64 v4, 0, 1, vcc
	v_or_b32_e32 v4, v12, v4
	v_cmp_gt_i32_e32 vcc, 1, v10
	v_mul_f16_sdwa v2, v43, v2 dst_sel:DWORD dst_unused:UNUSED_PAD src0_sel:WORD_1 src1_sel:DWORD
	v_fma_f16 v2, v43, v9, -v2
	v_cndmask_b32_e32 v4, v11, v4, vcc
	v_and_b32_e32 v11, 7, v4
	v_cmp_lt_i32_e32 vcc, 5, v11
	v_cmp_eq_u32_e64 s[0:1], 3, v11
	v_lshrrev_b32_e32 v4, 2, v4
	s_or_b64 vcc, s[0:1], vcc
	v_addc_co_u32_e32 v4, vcc, 0, v4, vcc
	v_cmp_gt_i32_e32 vcc, 31, v10
	v_cvt_f32_f16_e32 v2, v2
	v_and_b32_sdwa v9, v5, s9 dst_sel:DWORD dst_unused:UNUSED_PAD src0_sel:WORD_1 src1_sel:DWORD
	v_cndmask_b32_e32 v4, v8, v4, vcc
	v_cmp_ne_u32_e32 vcc, 0, v0
	s_nop 1
	v_cndmask_b32_e64 v0, 0, 1, vcc
	v_lshl_or_b32 v0, v0, 9, v8
	v_cmp_eq_u32_e32 vcc, s8, v10
	s_nop 1
	v_cndmask_b32_e32 v0, v4, v0, vcc
	v_cvt_f64_f32_e32 v[4:5], v2
	v_mul_f64 v[4:5], v[4:5], s[2:3]
	v_and_or_b32 v2, v5, s6, v4
	v_cmp_ne_u32_e32 vcc, 0, v2
	v_lshrrev_b32_e32 v4, 8, v5
	v_bfe_u32 v10, v5, 20, 11
	v_cndmask_b32_e64 v2, 0, 1, vcc
	v_and_or_b32 v2, v4, s7, v2
	v_sub_u32_e32 v11, 0x3f1, v10
	v_or_b32_e32 v4, 0x1000, v2
	v_med3_i32 v11, v11, 0, 13
	v_lshrrev_b32_e32 v12, v11, v4
	v_lshlrev_b32_e32 v11, v11, v12
	v_cmp_ne_u32_e32 vcc, v11, v4
	v_add_u32_e32 v10, 0xfffffc10, v10
	v_lshl_or_b32 v11, v10, 12, v2
	v_cndmask_b32_e64 v4, 0, 1, vcc
	v_or_b32_e32 v4, v12, v4
	v_cmp_gt_i32_e32 vcc, 1, v10
	v_bitop3_b32 v0, v9, s10, v0 bitop3:0xc8
	s_nop 0
	v_cndmask_b32_e32 v4, v11, v4, vcc
	v_and_b32_e32 v11, 7, v4
	v_cmp_lt_i32_e32 vcc, 5, v11
	v_cmp_eq_u32_e64 s[0:1], 3, v11
	v_lshrrev_b32_e32 v4, 2, v4
	s_or_b64 vcc, s[0:1], vcc
	v_addc_co_u32_e32 v4, vcc, 0, v4, vcc
	v_cmp_gt_i32_e32 vcc, 31, v10
	s_nop 1
	v_cndmask_b32_e32 v4, v8, v4, vcc
	v_cmp_ne_u32_e32 vcc, 0, v2
	s_nop 1
	v_cndmask_b32_e64 v2, 0, 1, vcc
	v_lshl_or_b32 v2, v2, 9, v8
	v_cmp_eq_u32_e32 vcc, s8, v10
	s_nop 1
	v_cndmask_b32_e32 v2, v4, v2, vcc
	v_lshrrev_b32_e32 v4, 16, v5
	v_and_or_b32 v2, v4, s9, v2
	ds_read2_b32 v[4:5], v15 offset0:64 offset1:208
	v_lshl_or_b32 v2, v2, 16, v0
	v_mov_b32_e32 v0, 0x480
	v_mad_u64_u32 v[10:11], s[0:1], s4, v0, v[6:7]
	s_waitcnt lgkmcnt(0)
	v_lshrrev_b32_e32 v9, 16, v4
	v_mul_f16_sdwa v6, v42, v9 dst_sel:DWORD dst_unused:UNUSED_PAD src0_sel:WORD_1 src1_sel:DWORD
	v_fma_f16 v6, v42, v4, v6
	v_cvt_f32_f16_e32 v6, v6
	v_add_u32_e32 v11, s11, v11
	global_store_dword v[10:11], v2, off
	v_mul_f16_sdwa v4, v42, v4 dst_sel:DWORD dst_unused:UNUSED_PAD src0_sel:WORD_1 src1_sel:DWORD
	v_cvt_f64_f32_e32 v[6:7], v6
	v_mul_f64 v[6:7], v[6:7], s[2:3]
	v_and_or_b32 v2, v7, s6, v6
	v_cmp_ne_u32_e32 vcc, 0, v2
	v_lshrrev_b32_e32 v6, 8, v7
	v_bfe_u32 v12, v7, 20, 11
	v_cndmask_b32_e64 v2, 0, 1, vcc
	v_and_or_b32 v2, v6, s7, v2
	v_sub_u32_e32 v13, 0x3f1, v12
	v_or_b32_e32 v6, 0x1000, v2
	v_med3_i32 v13, v13, 0, 13
	v_lshrrev_b32_e32 v14, v13, v6
	v_lshlrev_b32_e32 v13, v13, v14
	v_cmp_ne_u32_e32 vcc, v13, v6
	v_add_u32_e32 v12, 0xfffffc10, v12
	v_lshl_or_b32 v13, v12, 12, v2
	v_cndmask_b32_e64 v6, 0, 1, vcc
	v_or_b32_e32 v6, v14, v6
	v_cmp_gt_i32_e32 vcc, 1, v12
	v_fma_f16 v4, v42, v9, -v4
	v_cvt_f32_f16_e32 v4, v4
	v_cndmask_b32_e32 v6, v13, v6, vcc
	v_and_b32_e32 v13, 7, v6
	v_cmp_lt_i32_e32 vcc, 5, v13
	v_cmp_eq_u32_e64 s[0:1], 3, v13
	v_lshrrev_b32_e32 v6, 2, v6
	s_or_b64 vcc, s[0:1], vcc
	v_addc_co_u32_e32 v6, vcc, 0, v6, vcc
	v_cmp_gt_i32_e32 vcc, 31, v12
	v_and_b32_sdwa v9, v7, s9 dst_sel:DWORD dst_unused:UNUSED_PAD src0_sel:WORD_1 src1_sel:DWORD
	s_nop 0
	v_cndmask_b32_e32 v6, v8, v6, vcc
	v_cmp_ne_u32_e32 vcc, 0, v2
	s_nop 1
	v_cndmask_b32_e64 v2, 0, 1, vcc
	v_lshl_or_b32 v2, v2, 9, v8
	v_cmp_eq_u32_e32 vcc, s8, v12
	s_nop 1
	v_cndmask_b32_e32 v2, v6, v2, vcc
	v_cvt_f64_f32_e32 v[6:7], v4
	v_mul_f64 v[12:13], v[6:7], s[2:3]
	v_and_or_b32 v4, v13, s6, v12
	v_cmp_ne_u32_e32 vcc, 0, v4
	v_lshrrev_b32_e32 v6, 8, v13
	v_bfe_u32 v7, v13, 20, 11
	v_cndmask_b32_e64 v4, 0, 1, vcc
	v_and_or_b32 v4, v6, s7, v4
	v_sub_u32_e32 v12, 0x3f1, v7
	v_or_b32_e32 v6, 0x1000, v4
	v_med3_i32 v12, v12, 0, 13
	v_lshrrev_b32_e32 v14, v12, v6
	v_lshlrev_b32_e32 v12, v12, v14
	v_cmp_ne_u32_e32 vcc, v12, v6
	v_add_u32_e32 v7, 0xfffffc10, v7
	v_lshl_or_b32 v12, v7, 12, v4
	v_cndmask_b32_e64 v6, 0, 1, vcc
	v_or_b32_e32 v6, v14, v6
	v_cmp_gt_i32_e32 vcc, 1, v7
	v_bitop3_b32 v2, v9, s10, v2 bitop3:0xc8
	s_nop 0
	v_cndmask_b32_e32 v6, v12, v6, vcc
	v_and_b32_e32 v12, 7, v6
	v_cmp_lt_i32_e32 vcc, 5, v12
	v_cmp_eq_u32_e64 s[0:1], 3, v12
	v_lshrrev_b32_e32 v6, 2, v6
	s_or_b64 vcc, s[0:1], vcc
	v_addc_co_u32_e32 v6, vcc, 0, v6, vcc
	v_cmp_gt_i32_e32 vcc, 31, v7
	v_lshrrev_b32_e32 v12, 16, v13
	v_mad_u64_u32 v[10:11], s[0:1], s4, v0, v[10:11]
	v_cndmask_b32_e32 v6, v8, v6, vcc
	v_cmp_ne_u32_e32 vcc, 0, v4
	v_add_u32_e32 v11, s11, v11
	s_nop 0
	v_cndmask_b32_e64 v4, 0, 1, vcc
	v_lshl_or_b32 v4, v4, 9, v8
	v_cmp_eq_u32_e32 vcc, s8, v7
	s_nop 1
	v_cndmask_b32_e32 v4, v6, v4, vcc
	ds_read2_b32 v[6:7], v19 offset0:96 offset1:240
	v_and_or_b32 v4, v12, s9, v4
	v_lshl_or_b32 v2, v4, 16, v2
	global_store_dword v[10:11], v2, off
	s_waitcnt lgkmcnt(0)
	v_lshrrev_b32_e32 v4, 16, v6
	v_mul_f16_sdwa v9, v41, v4 dst_sel:DWORD dst_unused:UNUSED_PAD src0_sel:WORD_1 src1_sel:DWORD
	v_fma_f16 v9, v41, v6, v9
	v_cvt_f32_f16_e32 v9, v9
	v_mul_f16_sdwa v6, v41, v6 dst_sel:DWORD dst_unused:UNUSED_PAD src0_sel:WORD_1 src1_sel:DWORD
	v_fma_f16 v4, v41, v4, -v6
	v_cvt_f32_f16_e32 v4, v4
	v_cvt_f64_f32_e32 v[12:13], v9
	v_mul_f64 v[12:13], v[12:13], s[2:3]
	v_and_or_b32 v2, v13, s6, v12
	v_cmp_ne_u32_e32 vcc, 0, v2
	v_lshrrev_b32_e32 v9, 8, v13
	v_bfe_u32 v12, v13, 20, 11
	v_cndmask_b32_e64 v2, 0, 1, vcc
	v_and_or_b32 v2, v9, s7, v2
	v_sub_u32_e32 v14, 0x3f1, v12
	v_or_b32_e32 v9, 0x1000, v2
	v_med3_i32 v14, v14, 0, 13
	v_lshrrev_b32_e32 v15, v14, v9
	v_lshlrev_b32_e32 v14, v14, v15
	v_cmp_ne_u32_e32 vcc, v14, v9
	v_add_u32_e32 v12, 0xfffffc10, v12
	v_lshl_or_b32 v14, v12, 12, v2
	v_cndmask_b32_e64 v9, 0, 1, vcc
	v_or_b32_e32 v9, v15, v9
	v_cmp_gt_i32_e32 vcc, 1, v12
	v_and_b32_sdwa v6, v13, s9 dst_sel:DWORD dst_unused:UNUSED_PAD src0_sel:WORD_1 src1_sel:DWORD
	s_nop 0
	v_cndmask_b32_e32 v9, v14, v9, vcc
	v_and_b32_e32 v14, 7, v9
	v_cmp_lt_i32_e32 vcc, 5, v14
	v_cmp_eq_u32_e64 s[0:1], 3, v14
	v_lshrrev_b32_e32 v9, 2, v9
	s_or_b64 vcc, s[0:1], vcc
	v_addc_co_u32_e32 v9, vcc, 0, v9, vcc
	v_cmp_gt_i32_e32 vcc, 31, v12
	s_nop 1
	v_cndmask_b32_e32 v9, v8, v9, vcc
	v_cmp_ne_u32_e32 vcc, 0, v2
	s_nop 1
	v_cndmask_b32_e64 v2, 0, 1, vcc
	v_cmp_eq_u32_e32 vcc, s8, v12
	v_cvt_f64_f32_e32 v[12:13], v4
	v_mul_f64 v[12:13], v[12:13], s[2:3]
	v_lshl_or_b32 v2, v2, 9, v8
	v_and_or_b32 v4, v13, s6, v12
	v_cndmask_b32_e32 v2, v9, v2, vcc
	v_cmp_ne_u32_e32 vcc, 0, v4
	v_lshrrev_b32_e32 v9, 8, v13
	v_bfe_u32 v12, v13, 20, 11
	v_cndmask_b32_e64 v4, 0, 1, vcc
	v_and_or_b32 v4, v9, s7, v4
	v_sub_u32_e32 v14, 0x3f1, v12
	v_or_b32_e32 v9, 0x1000, v4
	v_med3_i32 v14, v14, 0, 13
	v_lshrrev_b32_e32 v15, v14, v9
	v_lshlrev_b32_e32 v14, v14, v15
	v_cmp_ne_u32_e32 vcc, v14, v9
	v_add_u32_e32 v12, 0xfffffc10, v12
	v_lshl_or_b32 v14, v12, 12, v4
	v_cndmask_b32_e64 v9, 0, 1, vcc
	v_or_b32_e32 v9, v15, v9
	v_cmp_gt_i32_e32 vcc, 1, v12
	v_bitop3_b32 v2, v6, s10, v2 bitop3:0xc8
	s_nop 0
	v_cndmask_b32_e32 v9, v14, v9, vcc
	v_and_b32_e32 v14, 7, v9
	v_cmp_lt_i32_e32 vcc, 5, v14
	v_cmp_eq_u32_e64 s[0:1], 3, v14
	v_lshrrev_b32_e32 v9, 2, v9
	s_or_b64 vcc, s[0:1], vcc
	v_addc_co_u32_e32 v9, vcc, 0, v9, vcc
	v_cmp_gt_i32_e32 vcc, 31, v12
	v_mad_u64_u32 v[10:11], s[0:1], s4, v0, v[10:11]
	s_nop 0
	v_cndmask_b32_e32 v9, v8, v9, vcc
	v_cmp_ne_u32_e32 vcc, 0, v4
	v_add_u32_e32 v11, s11, v11
	s_nop 0
	v_cndmask_b32_e64 v4, 0, 1, vcc
	v_lshl_or_b32 v4, v4, 9, v8
	v_cmp_eq_u32_e32 vcc, s8, v12
	s_nop 1
	v_cndmask_b32_e32 v4, v9, v4, vcc
	v_lshrrev_b32_e32 v9, 16, v13
	v_and_or_b32 v4, v9, s9, v4
	v_lshl_or_b32 v2, v4, 16, v2
	v_lshrrev_b32_e32 v4, 16, v1
	v_mul_f16_sdwa v6, v40, v4 dst_sel:DWORD dst_unused:UNUSED_PAD src0_sel:WORD_1 src1_sel:DWORD
	v_fma_f16 v6, v40, v1, v6
	v_cvt_f32_f16_e32 v6, v6
	global_store_dword v[10:11], v2, off
	v_mul_f16_sdwa v1, v40, v1 dst_sel:DWORD dst_unused:UNUSED_PAD src0_sel:WORD_1 src1_sel:DWORD
	v_fma_f16 v1, v40, v4, -v1
	v_cvt_f64_f32_e32 v[12:13], v6
	v_mul_f64 v[12:13], v[12:13], s[2:3]
	v_and_or_b32 v2, v13, s6, v12
	v_cmp_ne_u32_e32 vcc, 0, v2
	v_lshrrev_b32_e32 v6, 8, v13
	v_bfe_u32 v9, v13, 20, 11
	v_cndmask_b32_e64 v2, 0, 1, vcc
	v_and_or_b32 v2, v6, s7, v2
	v_sub_u32_e32 v12, 0x3f1, v9
	v_or_b32_e32 v6, 0x1000, v2
	v_med3_i32 v12, v12, 0, 13
	v_lshrrev_b32_e32 v14, v12, v6
	v_lshlrev_b32_e32 v12, v12, v14
	v_cmp_ne_u32_e32 vcc, v12, v6
	v_add_u32_e32 v9, 0xfffffc10, v9
	v_lshl_or_b32 v12, v9, 12, v2
	v_cndmask_b32_e64 v6, 0, 1, vcc
	v_or_b32_e32 v6, v14, v6
	v_cmp_gt_i32_e32 vcc, 1, v9
	v_cvt_f32_f16_e32 v1, v1
	v_and_b32_sdwa v4, v13, s9 dst_sel:DWORD dst_unused:UNUSED_PAD src0_sel:WORD_1 src1_sel:DWORD
	v_cndmask_b32_e32 v6, v12, v6, vcc
	v_and_b32_e32 v12, 7, v6
	v_cmp_lt_i32_e32 vcc, 5, v12
	v_cmp_eq_u32_e64 s[0:1], 3, v12
	v_lshrrev_b32_e32 v6, 2, v6
	s_or_b64 vcc, s[0:1], vcc
	v_addc_co_u32_e32 v6, vcc, 0, v6, vcc
	v_cmp_gt_i32_e32 vcc, 31, v9
	v_cvt_f64_f32_e32 v[12:13], v1
	v_mul_f64 v[12:13], v[12:13], s[2:3]
	v_cndmask_b32_e32 v6, v8, v6, vcc
	v_cmp_ne_u32_e32 vcc, 0, v2
	v_and_or_b32 v1, v13, s6, v12
	s_nop 0
	v_cndmask_b32_e64 v2, 0, 1, vcc
	v_lshl_or_b32 v2, v2, 9, v8
	v_cmp_eq_u32_e32 vcc, s8, v9
	v_bfe_u32 v9, v13, 20, 11
	v_sub_u32_e32 v12, 0x3f1, v9
	v_cndmask_b32_e32 v2, v6, v2, vcc
	v_cmp_ne_u32_e32 vcc, 0, v1
	v_lshrrev_b32_e32 v6, 8, v13
	v_med3_i32 v12, v12, 0, 13
	v_cndmask_b32_e64 v1, 0, 1, vcc
	v_and_or_b32 v1, v6, s7, v1
	v_or_b32_e32 v6, 0x1000, v1
	v_lshrrev_b32_e32 v14, v12, v6
	v_lshlrev_b32_e32 v12, v12, v14
	v_cmp_ne_u32_e32 vcc, v12, v6
	v_add_u32_e32 v9, 0xfffffc10, v9
	v_lshl_or_b32 v12, v9, 12, v1
	v_cndmask_b32_e64 v6, 0, 1, vcc
	v_or_b32_e32 v6, v14, v6
	v_cmp_gt_i32_e32 vcc, 1, v9
	v_bitop3_b32 v2, v4, s10, v2 bitop3:0xc8
	s_nop 0
	v_cndmask_b32_e32 v6, v12, v6, vcc
	v_and_b32_e32 v12, 7, v6
	v_cmp_lt_i32_e32 vcc, 5, v12
	v_cmp_eq_u32_e64 s[0:1], 3, v12
	v_lshrrev_b32_e32 v6, 2, v6
	s_or_b64 vcc, s[0:1], vcc
	v_addc_co_u32_e32 v6, vcc, 0, v6, vcc
	v_cmp_gt_i32_e32 vcc, 31, v9
	s_nop 1
	v_cndmask_b32_e32 v6, v8, v6, vcc
	v_cmp_ne_u32_e32 vcc, 0, v1
	s_nop 1
	v_cndmask_b32_e64 v1, 0, 1, vcc
	v_lshl_or_b32 v1, v1, 9, v8
	v_cmp_eq_u32_e32 vcc, s8, v9
	s_nop 1
	v_cndmask_b32_e32 v1, v6, v1, vcc
	v_lshrrev_b32_e32 v6, 16, v13
	v_and_or_b32 v1, v6, s9, v1
	v_lshl_or_b32 v1, v1, 16, v2
	v_mov_b32_e32 v2, 0xfffff4c0
	v_mad_u64_u32 v[10:11], s[0:1], s4, v2, v[10:11]
	v_lshrrev_b32_e32 v2, 16, v3
	v_mul_f16_sdwa v4, v39, v2 dst_sel:DWORD dst_unused:UNUSED_PAD src0_sel:WORD_1 src1_sel:DWORD
	v_fma_f16 v4, v39, v3, v4
	v_cvt_f32_f16_e32 v4, v4
	s_mul_i32 s0, s5, 0xfffff4c0
	s_sub_i32 s0, s0, s4
	v_add_u32_e32 v11, s0, v11
	v_cvt_f64_f32_e32 v[12:13], v4
	v_mul_f64 v[12:13], v[12:13], s[2:3]
	global_store_dword v[10:11], v1, off
	v_and_or_b32 v1, v13, s6, v12
	v_cmp_ne_u32_e32 vcc, 0, v1
	v_lshrrev_b32_e32 v4, 8, v13
	v_bfe_u32 v6, v13, 20, 11
	v_cndmask_b32_e64 v1, 0, 1, vcc
	v_and_or_b32 v1, v4, s7, v1
	v_sub_u32_e32 v9, 0x3f1, v6
	v_or_b32_e32 v4, 0x1000, v1
	v_med3_i32 v9, v9, 0, 13
	v_lshrrev_b32_e32 v12, v9, v4
	v_lshlrev_b32_e32 v9, v9, v12
	v_cmp_ne_u32_e32 vcc, v9, v4
	v_add_u32_e32 v6, 0xfffffc10, v6
	v_lshl_or_b32 v9, v6, 12, v1
	v_cndmask_b32_e64 v4, 0, 1, vcc
	v_or_b32_e32 v4, v12, v4
	v_cmp_gt_i32_e32 vcc, 1, v6
	v_mul_f16_sdwa v3, v39, v3 dst_sel:DWORD dst_unused:UNUSED_PAD src0_sel:WORD_1 src1_sel:DWORD
	v_fma_f16 v2, v39, v2, -v3
	v_cndmask_b32_e32 v4, v9, v4, vcc
	v_and_b32_e32 v9, 7, v4
	v_cmp_lt_i32_e32 vcc, 5, v9
	v_cmp_eq_u32_e64 s[0:1], 3, v9
	v_cvt_f32_f16_e32 v2, v2
	v_lshrrev_b32_e32 v4, 2, v4
	s_or_b64 vcc, s[0:1], vcc
	v_addc_co_u32_e32 v4, vcc, 0, v4, vcc
	v_cmp_gt_i32_e32 vcc, 31, v6
	v_cvt_f64_f32_e32 v[2:3], v2
	v_mul_f64 v[2:3], v[2:3], s[2:3]
	v_cndmask_b32_e32 v4, v8, v4, vcc
	v_cmp_ne_u32_e32 vcc, 0, v1
	v_and_or_b32 v2, v3, s6, v2
	v_bfe_u32 v9, v3, 20, 11
	v_cndmask_b32_e64 v1, 0, 1, vcc
	v_lshl_or_b32 v1, v1, 9, v8
	v_cmp_eq_u32_e32 vcc, s8, v6
	v_lshrrev_b32_e32 v6, 8, v3
	v_sub_u32_e32 v12, 0x3f1, v9
	v_cndmask_b32_e32 v1, v4, v1, vcc
	v_cmp_ne_u32_e32 vcc, 0, v2
	v_med3_i32 v12, v12, 0, 13
	v_and_b32_sdwa v4, v13, s9 dst_sel:DWORD dst_unused:UNUSED_PAD src0_sel:WORD_1 src1_sel:DWORD
	v_cndmask_b32_e64 v2, 0, 1, vcc
	v_and_or_b32 v2, v6, s7, v2
	v_or_b32_e32 v6, 0x1000, v2
	v_lshrrev_b32_e32 v13, v12, v6
	v_lshlrev_b32_e32 v12, v12, v13
	v_cmp_ne_u32_e32 vcc, v12, v6
	v_add_u32_e32 v9, 0xfffffc10, v9
	v_lshl_or_b32 v12, v9, 12, v2
	v_cndmask_b32_e64 v6, 0, 1, vcc
	v_or_b32_e32 v6, v13, v6
	v_cmp_gt_i32_e32 vcc, 1, v9
	v_lshrrev_b32_e32 v3, 16, v3
	v_bitop3_b32 v1, v4, s10, v1 bitop3:0xc8
	v_cndmask_b32_e32 v6, v12, v6, vcc
	v_and_b32_e32 v12, 7, v6
	v_cmp_lt_i32_e32 vcc, 5, v12
	v_cmp_eq_u32_e64 s[0:1], 3, v12
	v_lshrrev_b32_e32 v6, 2, v6
	s_or_b64 vcc, s[0:1], vcc
	v_addc_co_u32_e32 v6, vcc, 0, v6, vcc
	v_cmp_gt_i32_e32 vcc, 31, v9
	v_lshrrev_b32_e32 v4, 16, v5
	s_nop 0
	v_cndmask_b32_e32 v6, v8, v6, vcc
	v_cmp_ne_u32_e32 vcc, 0, v2
	s_nop 1
	v_cndmask_b32_e64 v2, 0, 1, vcc
	v_lshl_or_b32 v2, v2, 9, v8
	v_cmp_eq_u32_e32 vcc, s8, v9
	s_nop 1
	v_cndmask_b32_e32 v2, v6, v2, vcc
	v_and_or_b32 v2, v3, s9, v2
	v_lshl_or_b32 v1, v2, 16, v1
	v_mul_f16_sdwa v2, v38, v4 dst_sel:DWORD dst_unused:UNUSED_PAD src0_sel:WORD_1 src1_sel:DWORD
	v_fma_f16 v2, v38, v5, v2
	v_cvt_f32_f16_e32 v6, v2
	v_mad_u64_u32 v[2:3], s[0:1], s4, v0, v[10:11]
	v_add_u32_e32 v3, s11, v3
	v_cvt_f64_f32_e32 v[10:11], v6
	v_mul_f64 v[10:11], v[10:11], s[2:3]
	global_store_dword v[2:3], v1, off
	v_and_or_b32 v1, v11, s6, v10
	v_cmp_ne_u32_e32 vcc, 0, v1
	v_lshrrev_b32_e32 v6, 8, v11
	v_bfe_u32 v9, v11, 20, 11
	v_cndmask_b32_e64 v1, 0, 1, vcc
	v_and_or_b32 v1, v6, s7, v1
	v_sub_u32_e32 v10, 0x3f1, v9
	v_or_b32_e32 v6, 0x1000, v1
	v_med3_i32 v10, v10, 0, 13
	v_lshrrev_b32_e32 v12, v10, v6
	v_lshlrev_b32_e32 v10, v10, v12
	v_cmp_ne_u32_e32 vcc, v10, v6
	v_add_u32_e32 v9, 0xfffffc10, v9
	v_lshl_or_b32 v10, v9, 12, v1
	v_cndmask_b32_e64 v6, 0, 1, vcc
	v_or_b32_e32 v6, v12, v6
	v_cmp_gt_i32_e32 vcc, 1, v9
	v_mul_f16_sdwa v5, v38, v5 dst_sel:DWORD dst_unused:UNUSED_PAD src0_sel:WORD_1 src1_sel:DWORD
	v_fma_f16 v4, v38, v4, -v5
	v_cndmask_b32_e32 v6, v10, v6, vcc
	v_and_b32_e32 v10, 7, v6
	v_cmp_lt_i32_e32 vcc, 5, v10
	v_cmp_eq_u32_e64 s[0:1], 3, v10
	v_cvt_f32_f16_e32 v4, v4
	v_lshrrev_b32_e32 v6, 2, v6
	s_or_b64 vcc, s[0:1], vcc
	v_addc_co_u32_e32 v6, vcc, 0, v6, vcc
	v_cmp_gt_i32_e32 vcc, 31, v9
	v_cvt_f64_f32_e32 v[4:5], v4
	v_mul_f64 v[4:5], v[4:5], s[2:3]
	v_cndmask_b32_e32 v6, v8, v6, vcc
	v_cmp_ne_u32_e32 vcc, 0, v1
	v_and_or_b32 v4, v5, s6, v4
	v_bfe_u32 v10, v5, 20, 11
	v_cndmask_b32_e64 v1, 0, 1, vcc
	v_lshl_or_b32 v1, v1, 9, v8
	v_cmp_eq_u32_e32 vcc, s8, v9
	v_lshrrev_b32_e32 v9, 8, v5
	v_lshrrev_b32_e32 v5, 16, v5
	v_cndmask_b32_e32 v1, v6, v1, vcc
	v_cmp_ne_u32_e32 vcc, 0, v4
	v_and_b32_sdwa v6, v11, s9 dst_sel:DWORD dst_unused:UNUSED_PAD src0_sel:WORD_1 src1_sel:DWORD
	v_sub_u32_e32 v11, 0x3f1, v10
	v_cndmask_b32_e64 v4, 0, 1, vcc
	v_and_or_b32 v4, v9, s7, v4
	v_or_b32_e32 v9, 0x1000, v4
	v_med3_i32 v11, v11, 0, 13
	v_lshrrev_b32_e32 v12, v11, v9
	v_lshlrev_b32_e32 v11, v11, v12
	v_cmp_ne_u32_e32 vcc, v11, v9
	v_add_u32_e32 v10, 0xfffffc10, v10
	v_lshl_or_b32 v11, v10, 12, v4
	v_cndmask_b32_e64 v9, 0, 1, vcc
	v_or_b32_e32 v9, v12, v9
	v_cmp_gt_i32_e32 vcc, 1, v10
	v_bitop3_b32 v1, v6, s10, v1 bitop3:0xc8
	v_lshrrev_b32_e32 v6, 16, v7
	v_cndmask_b32_e32 v9, v11, v9, vcc
	v_and_b32_e32 v11, 7, v9
	v_cmp_lt_i32_e32 vcc, 5, v11
	v_cmp_eq_u32_e64 s[0:1], 3, v11
	v_lshrrev_b32_e32 v9, 2, v9
	s_or_b64 vcc, s[0:1], vcc
	v_addc_co_u32_e32 v9, vcc, 0, v9, vcc
	v_cmp_gt_i32_e32 vcc, 31, v10
	v_mad_u64_u32 v[2:3], s[0:1], s4, v0, v[2:3]
	s_nop 0
	v_cndmask_b32_e32 v9, v8, v9, vcc
	v_cmp_ne_u32_e32 vcc, 0, v4
	v_add_u32_e32 v3, s11, v3
	s_nop 0
	v_cndmask_b32_e64 v4, 0, 1, vcc
	v_lshl_or_b32 v4, v4, 9, v8
	v_cmp_eq_u32_e32 vcc, s8, v10
	s_nop 1
	v_cndmask_b32_e32 v4, v9, v4, vcc
	v_and_or_b32 v4, v5, s9, v4
	v_lshl_or_b32 v1, v4, 16, v1
	v_mul_f16_sdwa v4, v23, v6 dst_sel:DWORD dst_unused:UNUSED_PAD src0_sel:WORD_1 src1_sel:DWORD
	v_fma_f16 v4, v23, v7, v4
	v_cvt_f32_f16_e32 v4, v4
	global_store_dword v[2:3], v1, off
	v_mul_f16_sdwa v7, v23, v7 dst_sel:DWORD dst_unused:UNUSED_PAD src0_sel:WORD_1 src1_sel:DWORD
	v_fma_f16 v6, v23, v6, -v7
	v_cvt_f64_f32_e32 v[4:5], v4
	v_mul_f64 v[4:5], v[4:5], s[2:3]
	v_and_or_b32 v1, v5, s6, v4
	v_cmp_ne_u32_e32 vcc, 0, v1
	v_lshrrev_b32_e32 v4, 8, v5
	v_bfe_u32 v9, v5, 20, 11
	v_cndmask_b32_e64 v1, 0, 1, vcc
	v_and_or_b32 v1, v4, s7, v1
	v_sub_u32_e32 v10, 0x3f1, v9
	v_or_b32_e32 v4, 0x1000, v1
	v_med3_i32 v10, v10, 0, 13
	v_lshrrev_b32_e32 v11, v10, v4
	v_lshlrev_b32_e32 v10, v10, v11
	v_cmp_ne_u32_e32 vcc, v10, v4
	v_add_u32_e32 v9, 0xfffffc10, v9
	v_lshl_or_b32 v10, v9, 12, v1
	v_cndmask_b32_e64 v4, 0, 1, vcc
	v_or_b32_e32 v4, v11, v4
	v_cmp_gt_i32_e32 vcc, 1, v9
	v_cvt_f32_f16_e32 v6, v6
	v_and_b32_sdwa v7, v5, s9 dst_sel:DWORD dst_unused:UNUSED_PAD src0_sel:WORD_1 src1_sel:DWORD
	v_cndmask_b32_e32 v4, v10, v4, vcc
	v_and_b32_e32 v10, 7, v4
	v_cmp_lt_i32_e32 vcc, 5, v10
	v_cmp_eq_u32_e64 s[0:1], 3, v10
	v_lshrrev_b32_e32 v4, 2, v4
	s_or_b64 vcc, s[0:1], vcc
	v_addc_co_u32_e32 v4, vcc, 0, v4, vcc
	v_cmp_gt_i32_e32 vcc, 31, v9
	s_nop 1
	v_cndmask_b32_e32 v4, v8, v4, vcc
	v_cmp_ne_u32_e32 vcc, 0, v1
	s_nop 1
	v_cndmask_b32_e64 v1, 0, 1, vcc
	v_lshl_or_b32 v1, v1, 9, v8
	v_cmp_eq_u32_e32 vcc, s8, v9
	s_nop 1
	v_cndmask_b32_e32 v1, v4, v1, vcc
	v_cvt_f64_f32_e32 v[4:5], v6
	v_mul_f64 v[4:5], v[4:5], s[2:3]
	v_and_or_b32 v4, v5, s6, v4
	v_cmp_ne_u32_e32 vcc, 0, v4
	v_lshrrev_b32_e32 v6, 8, v5
	v_bfe_u32 v9, v5, 20, 11
	v_cndmask_b32_e64 v4, 0, 1, vcc
	v_and_or_b32 v4, v6, s7, v4
	v_sub_u32_e32 v10, 0x3f1, v9
	v_or_b32_e32 v6, 0x1000, v4
	v_med3_i32 v10, v10, 0, 13
	v_lshrrev_b32_e32 v11, v10, v6
	v_lshlrev_b32_e32 v10, v10, v11
	v_cmp_ne_u32_e32 vcc, v10, v6
	v_add_u32_e32 v9, 0xfffffc10, v9
	v_lshl_or_b32 v10, v9, 12, v4
	v_cndmask_b32_e64 v6, 0, 1, vcc
	v_or_b32_e32 v6, v11, v6
	v_cmp_gt_i32_e32 vcc, 1, v9
	v_lshrrev_b32_e32 v5, 16, v5
	v_bitop3_b32 v1, v7, s10, v1 bitop3:0xc8
	v_cndmask_b32_e32 v6, v10, v6, vcc
	v_and_b32_e32 v10, 7, v6
	v_cmp_lt_i32_e32 vcc, 5, v10
	v_cmp_eq_u32_e64 s[0:1], 3, v10
	v_lshrrev_b32_e32 v6, 2, v6
	s_or_b64 vcc, s[0:1], vcc
	v_addc_co_u32_e32 v6, vcc, 0, v6, vcc
	v_cmp_gt_i32_e32 vcc, 31, v9
	s_nop 1
	v_cndmask_b32_e32 v6, v8, v6, vcc
	v_cmp_ne_u32_e32 vcc, 0, v4
	s_nop 1
	v_cndmask_b32_e64 v4, 0, 1, vcc
	v_lshl_or_b32 v4, v4, 9, v8
	v_cmp_eq_u32_e32 vcc, s8, v9
	s_nop 1
	v_cndmask_b32_e32 v4, v6, v4, vcc
	v_and_or_b32 v4, v5, s9, v4
	v_lshl_or_b32 v4, v4, 16, v1
	v_mad_u64_u32 v[0:1], s[0:1], s4, v0, v[2:3]
	v_add_u32_e32 v1, s11, v1
	global_store_dword v[0:1], v4, off
.LBB0_18:
	s_endpgm
	.section	.rodata,"a",@progbits
	.p2align	6, 0x0
	.amdhsa_kernel bluestein_single_fwd_len1152_dim1_half_op_CI_CI
		.amdhsa_group_segment_fixed_size 4608
		.amdhsa_private_segment_fixed_size 0
		.amdhsa_kernarg_size 104
		.amdhsa_user_sgpr_count 2
		.amdhsa_user_sgpr_dispatch_ptr 0
		.amdhsa_user_sgpr_queue_ptr 0
		.amdhsa_user_sgpr_kernarg_segment_ptr 1
		.amdhsa_user_sgpr_dispatch_id 0
		.amdhsa_user_sgpr_kernarg_preload_length 0
		.amdhsa_user_sgpr_kernarg_preload_offset 0
		.amdhsa_user_sgpr_private_segment_size 0
		.amdhsa_uses_dynamic_stack 0
		.amdhsa_enable_private_segment 0
		.amdhsa_system_sgpr_workgroup_id_x 1
		.amdhsa_system_sgpr_workgroup_id_y 0
		.amdhsa_system_sgpr_workgroup_id_z 0
		.amdhsa_system_sgpr_workgroup_info 0
		.amdhsa_system_vgpr_workitem_id 0
		.amdhsa_next_free_vgpr 77
		.amdhsa_next_free_sgpr 16
		.amdhsa_accum_offset 80
		.amdhsa_reserve_vcc 1
		.amdhsa_float_round_mode_32 0
		.amdhsa_float_round_mode_16_64 0
		.amdhsa_float_denorm_mode_32 3
		.amdhsa_float_denorm_mode_16_64 3
		.amdhsa_dx10_clamp 1
		.amdhsa_ieee_mode 1
		.amdhsa_fp16_overflow 0
		.amdhsa_tg_split 0
		.amdhsa_exception_fp_ieee_invalid_op 0
		.amdhsa_exception_fp_denorm_src 0
		.amdhsa_exception_fp_ieee_div_zero 0
		.amdhsa_exception_fp_ieee_overflow 0
		.amdhsa_exception_fp_ieee_underflow 0
		.amdhsa_exception_fp_ieee_inexact 0
		.amdhsa_exception_int_div_zero 0
	.end_amdhsa_kernel
	.text
.Lfunc_end0:
	.size	bluestein_single_fwd_len1152_dim1_half_op_CI_CI, .Lfunc_end0-bluestein_single_fwd_len1152_dim1_half_op_CI_CI
                                        ; -- End function
	.section	.AMDGPU.csdata,"",@progbits
; Kernel info:
; codeLenInByte = 12376
; NumSgprs: 22
; NumVgprs: 77
; NumAgprs: 0
; TotalNumVgprs: 77
; ScratchSize: 0
; MemoryBound: 0
; FloatMode: 240
; IeeeMode: 1
; LDSByteSize: 4608 bytes/workgroup (compile time only)
; SGPRBlocks: 2
; VGPRBlocks: 9
; NumSGPRsForWavesPerEU: 22
; NumVGPRsForWavesPerEU: 77
; AccumOffset: 80
; Occupancy: 6
; WaveLimiterHint : 1
; COMPUTE_PGM_RSRC2:SCRATCH_EN: 0
; COMPUTE_PGM_RSRC2:USER_SGPR: 2
; COMPUTE_PGM_RSRC2:TRAP_HANDLER: 0
; COMPUTE_PGM_RSRC2:TGID_X_EN: 1
; COMPUTE_PGM_RSRC2:TGID_Y_EN: 0
; COMPUTE_PGM_RSRC2:TGID_Z_EN: 0
; COMPUTE_PGM_RSRC2:TIDIG_COMP_CNT: 0
; COMPUTE_PGM_RSRC3_GFX90A:ACCUM_OFFSET: 19
; COMPUTE_PGM_RSRC3_GFX90A:TG_SPLIT: 0
	.text
	.p2alignl 6, 3212836864
	.fill 256, 4, 3212836864
	.type	__hip_cuid_41c45ef307eb6b2,@object ; @__hip_cuid_41c45ef307eb6b2
	.section	.bss,"aw",@nobits
	.globl	__hip_cuid_41c45ef307eb6b2
__hip_cuid_41c45ef307eb6b2:
	.byte	0                               ; 0x0
	.size	__hip_cuid_41c45ef307eb6b2, 1

	.ident	"AMD clang version 19.0.0git (https://github.com/RadeonOpenCompute/llvm-project roc-6.4.0 25133 c7fe45cf4b819c5991fe208aaa96edf142730f1d)"
	.section	".note.GNU-stack","",@progbits
	.addrsig
	.addrsig_sym __hip_cuid_41c45ef307eb6b2
	.amdgpu_metadata
---
amdhsa.kernels:
  - .agpr_count:     0
    .args:
      - .actual_access:  read_only
        .address_space:  global
        .offset:         0
        .size:           8
        .value_kind:     global_buffer
      - .actual_access:  read_only
        .address_space:  global
        .offset:         8
        .size:           8
        .value_kind:     global_buffer
      - .actual_access:  read_only
        .address_space:  global
        .offset:         16
        .size:           8
        .value_kind:     global_buffer
      - .actual_access:  read_only
        .address_space:  global
        .offset:         24
        .size:           8
        .value_kind:     global_buffer
      - .actual_access:  read_only
        .address_space:  global
        .offset:         32
        .size:           8
        .value_kind:     global_buffer
      - .offset:         40
        .size:           8
        .value_kind:     by_value
      - .address_space:  global
        .offset:         48
        .size:           8
        .value_kind:     global_buffer
      - .address_space:  global
        .offset:         56
        .size:           8
        .value_kind:     global_buffer
      - .address_space:  global
        .offset:         64
        .size:           8
        .value_kind:     global_buffer
      - .address_space:  global
        .offset:         72
        .size:           8
        .value_kind:     global_buffer
      - .offset:         80
        .size:           4
        .value_kind:     by_value
      - .address_space:  global
        .offset:         88
        .size:           8
        .value_kind:     global_buffer
      - .address_space:  global
        .offset:         96
        .size:           8
        .value_kind:     global_buffer
    .group_segment_fixed_size: 4608
    .kernarg_segment_align: 8
    .kernarg_segment_size: 104
    .language:       OpenCL C
    .language_version:
      - 2
      - 0
    .max_flat_workgroup_size: 144
    .name:           bluestein_single_fwd_len1152_dim1_half_op_CI_CI
    .private_segment_fixed_size: 0
    .sgpr_count:     22
    .sgpr_spill_count: 0
    .symbol:         bluestein_single_fwd_len1152_dim1_half_op_CI_CI.kd
    .uniform_work_group_size: 1
    .uses_dynamic_stack: false
    .vgpr_count:     77
    .vgpr_spill_count: 0
    .wavefront_size: 64
amdhsa.target:   amdgcn-amd-amdhsa--gfx950
amdhsa.version:
  - 1
  - 2
...

	.end_amdgpu_metadata
